;; amdgpu-corpus repo=ROCm/rocFFT kind=compiled arch=gfx950 opt=O3
	.text
	.amdgcn_target "amdgcn-amd-amdhsa--gfx950"
	.amdhsa_code_object_version 6
	.protected	fft_rtc_back_len224_factors_7_2_2_2_2_2_wgs_64_tpt_16_halfLds_sp_op_CI_CI_unitstride_sbrr_R2C_dirReg ; -- Begin function fft_rtc_back_len224_factors_7_2_2_2_2_2_wgs_64_tpt_16_halfLds_sp_op_CI_CI_unitstride_sbrr_R2C_dirReg
	.globl	fft_rtc_back_len224_factors_7_2_2_2_2_2_wgs_64_tpt_16_halfLds_sp_op_CI_CI_unitstride_sbrr_R2C_dirReg
	.p2align	8
	.type	fft_rtc_back_len224_factors_7_2_2_2_2_2_wgs_64_tpt_16_halfLds_sp_op_CI_CI_unitstride_sbrr_R2C_dirReg,@function
fft_rtc_back_len224_factors_7_2_2_2_2_2_wgs_64_tpt_16_halfLds_sp_op_CI_CI_unitstride_sbrr_R2C_dirReg: ; @fft_rtc_back_len224_factors_7_2_2_2_2_2_wgs_64_tpt_16_halfLds_sp_op_CI_CI_unitstride_sbrr_R2C_dirReg
; %bb.0:
	s_load_dwordx4 s[4:7], s[0:1], 0x58
	s_load_dwordx4 s[8:11], s[0:1], 0x0
	;; [unrolled: 1-line block ×3, first 2 shown]
	v_lshrrev_b32_e32 v1, 4, v0
	v_lshl_or_b32 v8, s2, 2, v1
	v_mov_b32_e32 v4, 0
	s_waitcnt lgkmcnt(0)
	v_cmp_lt_u64_e64 s[2:3], s[10:11], 2
	v_mov_b32_e32 v9, v4
	s_and_b64 vcc, exec, s[2:3]
	v_mov_b64_e32 v[20:21], 0
	s_cbranch_vccnz .LBB0_8
; %bb.1:
	s_load_dwordx2 s[2:3], s[0:1], 0x10
	s_add_u32 s16, s14, 8
	s_addc_u32 s17, s15, 0
	s_add_u32 s18, s12, 8
	s_addc_u32 s19, s13, 0
	s_waitcnt lgkmcnt(0)
	s_add_u32 s20, s2, 8
	v_mov_b64_e32 v[20:21], 0
	s_addc_u32 s21, s3, 0
	s_mov_b64 s[22:23], 1
	v_mov_b64_e32 v[2:3], v[20:21]
.LBB0_2:                                ; =>This Inner Loop Header: Depth=1
	s_load_dwordx2 s[24:25], s[20:21], 0x0
                                        ; implicit-def: $vgpr6_vgpr7
	s_waitcnt lgkmcnt(0)
	v_or_b32_e32 v5, s25, v9
	v_cmp_ne_u64_e32 vcc, 0, v[4:5]
	s_and_saveexec_b64 s[2:3], vcc
	s_xor_b64 s[26:27], exec, s[2:3]
	s_cbranch_execz .LBB0_4
; %bb.3:                                ;   in Loop: Header=BB0_2 Depth=1
	v_cvt_f32_u32_e32 v5, s24
	v_cvt_f32_u32_e32 v6, s25
	s_sub_u32 s2, 0, s24
	s_subb_u32 s3, 0, s25
	v_fmac_f32_e32 v5, 0x4f800000, v6
	v_rcp_f32_e32 v5, v5
	s_nop 0
	v_mul_f32_e32 v5, 0x5f7ffffc, v5
	v_mul_f32_e32 v6, 0x2f800000, v5
	v_trunc_f32_e32 v6, v6
	v_fmac_f32_e32 v5, 0xcf800000, v6
	v_cvt_u32_f32_e32 v12, v6
	v_cvt_u32_f32_e32 v5, v5
	v_mul_lo_u32 v6, s2, v12
	v_mul_hi_u32 v10, s2, v5
	v_mul_lo_u32 v7, s3, v5
	v_add_u32_e32 v10, v10, v6
	v_mul_lo_u32 v13, s2, v5
	v_add_u32_e32 v14, v10, v7
	v_mul_hi_u32 v6, v5, v13
	v_mul_hi_u32 v11, v5, v14
	v_mul_lo_u32 v10, v5, v14
	v_mov_b32_e32 v7, v4
	v_lshl_add_u64 v[6:7], v[6:7], 0, v[10:11]
	v_mul_hi_u32 v11, v12, v13
	v_mul_lo_u32 v13, v12, v13
	v_add_co_u32_e32 v6, vcc, v6, v13
	v_mul_hi_u32 v10, v12, v14
	s_nop 0
	v_addc_co_u32_e32 v6, vcc, v7, v11, vcc
	v_mov_b32_e32 v7, v4
	s_nop 0
	v_addc_co_u32_e32 v11, vcc, 0, v10, vcc
	v_mul_lo_u32 v10, v12, v14
	v_lshl_add_u64 v[6:7], v[6:7], 0, v[10:11]
	v_add_co_u32_e32 v5, vcc, v5, v6
	v_mul_lo_u32 v10, s2, v5
	s_nop 0
	v_addc_co_u32_e32 v12, vcc, v12, v7, vcc
	v_mul_lo_u32 v6, s2, v12
	v_mul_hi_u32 v7, s2, v5
	v_add_u32_e32 v6, v7, v6
	v_mul_lo_u32 v7, s3, v5
	v_add_u32_e32 v13, v6, v7
	v_mul_hi_u32 v15, v12, v10
	v_mul_lo_u32 v16, v12, v10
	v_mul_hi_u32 v7, v5, v13
	v_mul_lo_u32 v6, v5, v13
	v_mul_hi_u32 v10, v5, v10
	v_mov_b32_e32 v11, v4
	v_lshl_add_u64 v[6:7], v[10:11], 0, v[6:7]
	v_add_co_u32_e32 v6, vcc, v6, v16
	v_mul_hi_u32 v14, v12, v13
	s_nop 0
	v_addc_co_u32_e32 v6, vcc, v7, v15, vcc
	v_mul_lo_u32 v10, v12, v13
	s_nop 0
	v_addc_co_u32_e32 v11, vcc, 0, v14, vcc
	v_mov_b32_e32 v7, v4
	v_lshl_add_u64 v[6:7], v[6:7], 0, v[10:11]
	v_add_co_u32_e32 v5, vcc, v5, v6
	v_mul_hi_u32 v10, v8, v5
	s_nop 0
	v_addc_co_u32_e32 v12, vcc, v12, v7, vcc
	v_mad_u64_u32 v[6:7], s[2:3], v8, v12, 0
	v_mov_b32_e32 v11, v4
	v_lshl_add_u64 v[6:7], v[10:11], 0, v[6:7]
	v_mad_u64_u32 v[10:11], s[2:3], v9, v12, 0
	v_mad_u64_u32 v[12:13], s[2:3], v9, v5, 0
	v_add_co_u32_e32 v5, vcc, v6, v12
	s_nop 1
	v_addc_co_u32_e32 v6, vcc, v7, v13, vcc
	v_mov_b32_e32 v7, v4
	s_nop 0
	v_addc_co_u32_e32 v11, vcc, 0, v11, vcc
	v_lshl_add_u64 v[6:7], v[6:7], 0, v[10:11]
	v_mul_lo_u32 v5, s25, v6
	v_mul_lo_u32 v12, s24, v7
	v_mad_u64_u32 v[10:11], s[2:3], s24, v6, 0
	v_add3_u32 v5, v11, v12, v5
	v_sub_u32_e32 v11, v9, v5
	v_mov_b32_e32 v12, s25
	v_sub_co_u32_e32 v14, vcc, v8, v10
	s_nop 1
	v_subb_co_u32_e64 v10, s[2:3], v11, v12, vcc
	v_subrev_co_u32_e64 v11, s[2:3], s24, v14
	v_subb_co_u32_e32 v5, vcc, v9, v5, vcc
	s_nop 0
	v_subbrev_co_u32_e64 v10, s[2:3], 0, v10, s[2:3]
	v_cmp_le_u32_e64 s[2:3], s25, v10
	v_cmp_le_u32_e32 vcc, s25, v5
	s_nop 0
	v_cndmask_b32_e64 v12, 0, -1, s[2:3]
	v_cmp_le_u32_e64 s[2:3], s24, v11
	s_nop 1
	v_cndmask_b32_e64 v11, 0, -1, s[2:3]
	v_cmp_eq_u32_e64 s[2:3], s25, v10
	s_nop 1
	v_cndmask_b32_e64 v15, v12, v11, s[2:3]
	v_lshl_add_u64 v[10:11], v[6:7], 0, 2
	v_lshl_add_u64 v[12:13], v[6:7], 0, 1
	v_cmp_ne_u32_e64 s[2:3], 0, v15
	s_nop 1
	v_cndmask_b32_e64 v11, v13, v11, s[2:3]
	v_cndmask_b32_e64 v13, 0, -1, vcc
	v_cmp_le_u32_e32 vcc, s24, v14
	s_nop 1
	v_cndmask_b32_e64 v14, 0, -1, vcc
	v_cmp_eq_u32_e32 vcc, s25, v5
	s_nop 1
	v_cndmask_b32_e32 v5, v13, v14, vcc
	v_cmp_ne_u32_e32 vcc, 0, v5
	v_cndmask_b32_e64 v5, v12, v10, s[2:3]
	s_nop 0
	v_cndmask_b32_e32 v7, v7, v11, vcc
	v_cndmask_b32_e32 v6, v6, v5, vcc
.LBB0_4:                                ;   in Loop: Header=BB0_2 Depth=1
	s_andn2_saveexec_b64 s[2:3], s[26:27]
	s_cbranch_execz .LBB0_6
; %bb.5:                                ;   in Loop: Header=BB0_2 Depth=1
	v_cvt_f32_u32_e32 v5, s24
	s_sub_i32 s26, 0, s24
	v_rcp_iflag_f32_e32 v5, v5
	s_nop 0
	v_mul_f32_e32 v5, 0x4f7ffffe, v5
	v_cvt_u32_f32_e32 v5, v5
	v_mul_lo_u32 v6, s26, v5
	v_mul_hi_u32 v6, v5, v6
	v_add_u32_e32 v5, v5, v6
	v_mul_hi_u32 v5, v8, v5
	v_mul_lo_u32 v6, v5, s24
	v_sub_u32_e32 v6, v8, v6
	v_add_u32_e32 v7, 1, v5
	v_subrev_u32_e32 v10, s24, v6
	v_cmp_le_u32_e32 vcc, s24, v6
	s_nop 1
	v_cndmask_b32_e32 v6, v6, v10, vcc
	v_cndmask_b32_e32 v5, v5, v7, vcc
	v_add_u32_e32 v7, 1, v5
	v_cmp_le_u32_e32 vcc, s24, v6
	s_nop 1
	v_cndmask_b32_e32 v6, v5, v7, vcc
	v_mov_b32_e32 v7, v4
.LBB0_6:                                ;   in Loop: Header=BB0_2 Depth=1
	s_or_b64 exec, exec, s[2:3]
	v_mad_u64_u32 v[10:11], s[2:3], v6, s24, 0
	s_load_dwordx2 s[2:3], s[18:19], 0x0
	v_mul_lo_u32 v5, v7, s24
	v_mul_lo_u32 v12, v6, s25
	s_load_dwordx2 s[24:25], s[16:17], 0x0
	s_add_u32 s22, s22, 1
	v_add3_u32 v5, v11, v12, v5
	v_sub_co_u32_e32 v8, vcc, v8, v10
	s_addc_u32 s23, s23, 0
	s_nop 0
	v_subb_co_u32_e32 v5, vcc, v9, v5, vcc
	s_add_u32 s16, s16, 8
	s_waitcnt lgkmcnt(0)
	v_mul_lo_u32 v9, s2, v5
	v_mul_lo_u32 v10, s3, v8
	v_mad_u64_u32 v[20:21], s[2:3], s2, v8, v[20:21]
	s_addc_u32 s17, s17, 0
	v_add3_u32 v21, v10, v21, v9
	v_mul_lo_u32 v5, s24, v5
	v_mul_lo_u32 v9, s25, v8
	v_mad_u64_u32 v[2:3], s[2:3], s24, v8, v[2:3]
	s_add_u32 s18, s18, 8
	v_add3_u32 v3, v9, v3, v5
	s_addc_u32 s19, s19, 0
	v_mov_b64_e32 v[8:9], s[10:11]
	s_add_u32 s20, s20, 8
	v_cmp_ge_u64_e32 vcc, s[22:23], v[8:9]
	s_addc_u32 s21, s21, 0
	s_cbranch_vccnz .LBB0_9
; %bb.7:                                ;   in Loop: Header=BB0_2 Depth=1
	v_mov_b64_e32 v[8:9], v[6:7]
	s_branch .LBB0_2
.LBB0_8:
	v_mov_b64_e32 v[2:3], v[20:21]
	v_mov_b64_e32 v[6:7], v[8:9]
.LBB0_9:
	s_load_dwordx2 s[0:1], s[0:1], 0x28
	s_lshl_b64 s[10:11], s[10:11], 3
	s_add_u32 s2, s14, s10
	s_addc_u32 s3, s15, s11
	v_and_b32_e32 v4, 15, v0
	s_waitcnt lgkmcnt(0)
	v_cmp_gt_u64_e32 vcc, s[0:1], v[6:7]
	v_cmp_le_u64_e64 s[0:1], s[0:1], v[6:7]
                                        ; implicit-def: $vgpr8
                                        ; implicit-def: $vgpr18
                                        ; implicit-def: $vgpr12
                                        ; implicit-def: $vgpr10
                                        ; implicit-def: $vgpr16
                                        ; implicit-def: $vgpr14
	s_and_saveexec_b64 s[14:15], s[0:1]
	s_xor_b64 s[0:1], exec, s[14:15]
	s_cbranch_execz .LBB0_11
; %bb.10:
	v_and_b32_e32 v4, 15, v0
	v_mov_b32_e32 v5, 0
	v_or_b32_e32 v8, 16, v4
	v_or_b32_e32 v18, 32, v4
	;; [unrolled: 1-line block ×6, first 2 shown]
	v_mov_b32_e32 v9, v5
	v_mov_b32_e32 v19, v5
	;; [unrolled: 1-line block ×6, first 2 shown]
                                        ; implicit-def: $vgpr20_vgpr21
.LBB0_11:
	s_or_saveexec_b64 s[0:1], s[0:1]
	v_mul_u32_u24_e32 v0, 0xe1, v1
	v_lshlrev_b32_e32 v26, 3, v0
	s_xor_b64 exec, exec, s[0:1]
	s_cbranch_execz .LBB0_13
; %bb.12:
	s_add_u32 s10, s12, s10
	s_addc_u32 s11, s13, s11
	s_load_dwordx2 s[10:11], s[10:11], 0x0
	v_mov_b32_e32 v5, 0
	v_or_b32_e32 v18, 32, v4
	v_or_b32_e32 v12, 48, v4
	;; [unrolled: 1-line block ×3, first 2 shown]
	s_waitcnt lgkmcnt(0)
	v_mul_lo_u32 v8, s11, v6
	v_mul_lo_u32 v9, s10, v7
	v_mad_u64_u32 v[0:1], s[10:11], s10, v6, 0
	v_add3_u32 v1, v1, v9, v8
	v_lshl_add_u64 v[0:1], v[0:1], 3, s[4:5]
	v_lshl_add_u64 v[0:1], v[20:21], 3, v[0:1]
	v_lshlrev_b32_e32 v20, 3, v4
	v_mov_b32_e32 v21, v5
	v_lshl_add_u64 v[0:1], v[0:1], 0, v[20:21]
	global_load_dwordx2 v[22:23], v[0:1], off
	global_load_dwordx2 v[24:25], v[0:1], off offset:128
	global_load_dwordx2 v[28:29], v[0:1], off offset:256
	;; [unrolled: 1-line block ×13, first 2 shown]
	v_or_b32_e32 v8, 16, v4
	v_or_b32_e32 v16, 0x50, v4
	;; [unrolled: 1-line block ×3, first 2 shown]
	v_add3_u32 v0, 0, v26, v20
	v_mov_b32_e32 v9, v5
	v_mov_b32_e32 v19, v5
	;; [unrolled: 1-line block ×6, first 2 shown]
	s_waitcnt vmcnt(12)
	ds_write2_b64 v0, v[22:23], v[24:25] offset1:16
	s_waitcnt vmcnt(10)
	ds_write2_b64 v0, v[28:29], v[30:31] offset0:32 offset1:48
	s_waitcnt vmcnt(8)
	ds_write2_b64 v0, v[32:33], v[34:35] offset0:64 offset1:80
	;; [unrolled: 2-line block ×6, first 2 shown]
.LBB0_13:
	s_or_b64 exec, exec, s[0:1]
	v_lshlrev_b32_e32 v24, 3, v4
	v_add3_u32 v25, 0, v24, v26
	s_load_dwordx2 s[2:3], s[2:3], 0x0
	s_waitcnt lgkmcnt(0)
	; wave barrier
	s_waitcnt lgkmcnt(0)
	ds_read2_b64 v[20:23], v25 offset0:16 offset1:32
	ds_read2_b64 v[30:33], v25 offset0:48 offset1:64
	;; [unrolled: 1-line block ×6, first 2 shown]
	s_mov_b32 s4, 0xbeae86e6
	s_mov_b32 s5, 0x3f08b237
	s_waitcnt lgkmcnt(2)
	v_pk_add_f32 v[0:1], v[22:23], v[40:41]
	s_waitcnt lgkmcnt(1)
	v_pk_add_f32 v[50:51], v[32:33], v[44:45]
	;; [unrolled: 2-line block ×3, first 2 shown]
	v_pk_add_f32 v[52:53], v[50:51], v[0:1]
	v_pk_add_f32 v[22:23], v[22:23], v[40:41] neg_lo:[0,1] neg_hi:[0,1]
	v_pk_add_f32 v[32:33], v[32:33], v[44:45] neg_lo:[0,1] neg_hi:[0,1]
	v_mov_b32_e32 v40, v28
	v_mov_b32_e32 v41, v1
	;; [unrolled: 1-line block ×4, first 2 shown]
	v_pk_add_f32 v[52:53], v[28:29], v[52:53]
	v_pk_add_f32 v[36:37], v[48:49], v[36:37] neg_lo:[0,1] neg_hi:[0,1]
	v_pk_add_f32 v[40:41], v[40:41], v[44:45] neg_lo:[0,1] neg_hi:[0,1]
	v_mov_b32_e32 v44, v0
	v_mov_b32_e32 v29, v51
	v_pk_add_f32 v[44:45], v[44:45], v[28:29] neg_lo:[0,1] neg_hi:[0,1]
	v_mov_b32_e32 v28, v37
	v_mov_b32_e32 v29, v22
	;; [unrolled: 1-line block ×4, first 2 shown]
	v_pk_add_f32 v[28:29], v[28:29], v[48:49] neg_lo:[0,1] neg_hi:[0,1]
	v_mov_b32_e32 v48, v23
	v_mov_b32_e32 v54, v37
	;; [unrolled: 1-line block ×3, first 2 shown]
	s_mov_b32 s10, s5
	s_mov_b32 s11, s4
	v_pk_add_f32 v[48:49], v[48:49], v[54:55] neg_lo:[0,1] neg_hi:[0,1]
	v_pk_mul_f32 v[54:55], v[28:29], s[10:11]
	v_add_u32_e32 v28, 0, v26
	v_add_u32_e32 v29, v28, v24
	ds_read_b64 v[56:57], v29
	v_pk_add_f32 v[36:37], v[36:37], v[32:33]
	s_mov_b32 s0, 0xbee1c552
	v_pk_add_f32 v[36:37], v[36:37], v[22:23]
	s_mov_b32 s20, 0x3d64c772
	v_pk_mul_f32 v[58:59], v[36:37], s[0:1] op_sel_hi:[1,0]
	v_pk_fma_f32 v[60:61], v[48:49], s[4:5], v[54:55]
	s_mov_b32 s21, 0x3f4a47b2
	v_pk_add_f32 v[58:59], v[58:59], v[60:61] op_sel:[1,0] op_sel_hi:[0,1]
	ds_read_b64 v[60:61], v25 offset:1664
	s_waitcnt lgkmcnt(1)
	v_pk_add_f32 v[56:57], v[56:57], v[52:53]
	s_mov_b32 s16, 0x3f955555
	v_pk_mul_f32 v[40:41], v[40:41], s[20:21]
	s_mov_b32 s18, s21
	s_mov_b32 s19, s20
	v_pk_fma_f32 v[52:53], v[52:53], s[16:17], v[56:57] op_sel_hi:[1,0,1] neg_lo:[1,0,0] neg_hi:[1,0,0]
	v_pk_fma_f32 v[62:63], v[44:45], s[18:19], v[40:41]
	v_pk_add_f32 v[22:23], v[32:33], v[22:23] neg_lo:[0,1] neg_hi:[0,1]
	v_pk_mul_f32 v[32:33], v[44:45], s[18:19]
	v_pk_mul_f32 v[44:45], v[48:49], s[4:5]
	v_pk_add_f32 v[62:63], v[62:63], v[52:53]
	v_pk_add_f32 v[0:1], v[50:51], v[0:1] neg_lo:[0,1] neg_hi:[0,1]
	s_mov_b32 s14, 0x3f3bfb3b
	s_mov_b32 s12, 0xbf5ff5aa
	v_mov_b32_e32 v48, v32
	v_mov_b32_e32 v49, v41
	;; [unrolled: 1-line block ×7, first 2 shown]
	v_pk_add_f32 v[64:65], v[62:63], v[58:59]
	v_pk_add_f32 v[58:59], v[62:63], v[58:59] neg_lo:[0,1] neg_hi:[0,1]
	v_pk_fma_f32 v[48:49], v[0:1], s[14:15], v[48:49] op_sel_hi:[1,0,1] neg_lo:[1,0,1] neg_hi:[1,0,1]
	v_pk_fma_f32 v[50:51], v[22:23], s[12:13], v[50:51] op_sel_hi:[1,0,1] neg_lo:[1,0,1] neg_hi:[1,0,1]
	;; [unrolled: 1-line block ×4, first 2 shown]
	v_mov_b32_e32 v62, v64
	v_mov_b32_e32 v63, v59
	v_mad_u32_u24 v27, v4, 48, v25
	v_pk_add_f32 v[48:49], v[48:49], v[52:53]
	v_pk_fma_f32 v[50:51], v[36:37], s[0:1], v[50:51] op_sel_hi:[1,0,1]
	v_pk_add_f32 v[0:1], v[0:1], v[52:53]
	v_pk_fma_f32 v[22:23], v[36:37], s[0:1], v[22:23] op_sel_hi:[1,0,1]
	s_waitcnt lgkmcnt(0)
	; wave barrier
	s_waitcnt lgkmcnt(0)
	ds_write2_b64 v27, v[56:57], v[62:63] offset1:1
	v_pk_add_f32 v[56:57], v[48:49], v[50:51] op_sel:[0,1] op_sel_hi:[1,0]
	v_pk_add_f32 v[48:49], v[48:49], v[50:51] op_sel:[0,1] op_sel_hi:[1,0] neg_lo:[0,1] neg_hi:[0,1]
	v_pk_add_f32 v[32:33], v[0:1], v[22:23] op_sel:[0,1] op_sel_hi:[1,0] neg_lo:[0,1] neg_hi:[0,1]
	v_pk_add_f32 v[0:1], v[0:1], v[22:23] op_sel:[0,1] op_sel_hi:[1,0]
	v_mov_b32_e32 v22, v56
	v_mov_b32_e32 v23, v49
	;; [unrolled: 1-line block ×6, first 2 shown]
	ds_write2_b64 v27, v[22:23], v[36:37] offset0:2 offset1:3
	v_pk_add_f32 v[22:23], v[30:31], v[60:61]
	v_pk_add_f32 v[32:33], v[34:35], v[38:39]
	ds_write2_b64 v27, v[0:1], v[48:49] offset0:4 offset1:5
	v_pk_add_f32 v[0:1], v[46:47], v[42:43]
	v_pk_add_f32 v[36:37], v[32:33], v[22:23]
	v_pk_add_f32 v[30:31], v[30:31], v[60:61] neg_lo:[0,1] neg_hi:[0,1]
	v_pk_add_f32 v[34:35], v[34:35], v[38:39] neg_lo:[0,1] neg_hi:[0,1]
	;; [unrolled: 1-line block ×3, first 2 shown]
	v_mov_b32_e32 v40, v0
	v_mov_b32_e32 v41, v23
	;; [unrolled: 1-line block ×4, first 2 shown]
	v_pk_add_f32 v[36:37], v[0:1], v[36:37]
	v_pk_add_f32 v[40:41], v[40:41], v[42:43] neg_lo:[0,1] neg_hi:[0,1]
	v_mov_b32_e32 v42, v22
	v_mov_b32_e32 v1, v33
	;; [unrolled: 1-line block ×6, first 2 shown]
	v_pk_add_f32 v[0:1], v[42:43], v[0:1] neg_lo:[0,1] neg_hi:[0,1]
	v_pk_add_f32 v[42:43], v[38:39], v[34:35]
	v_pk_add_f32 v[44:45], v[44:45], v[46:47] neg_lo:[0,1] neg_hi:[0,1]
	v_mov_b32_e32 v46, v31
	v_mov_b32_e32 v38, v39
	;; [unrolled: 1-line block ×3, first 2 shown]
	v_pk_add_f32 v[20:21], v[20:21], v[36:37]
	v_pk_add_f32 v[38:39], v[46:47], v[38:39] neg_lo:[0,1] neg_hi:[0,1]
	v_pk_add_f32 v[42:43], v[42:43], v[30:31]
	v_pk_mul_f32 v[40:41], v[40:41], s[20:21]
	v_pk_mul_f32 v[44:45], v[44:45], s[10:11]
	;; [unrolled: 1-line block ×3, first 2 shown]
	v_pk_mul_f32 v[48:49], v[42:43], s[0:1] op_sel_hi:[1,0]
	v_pk_mul_f32 v[50:51], v[38:39], s[4:5]
	v_pk_fma_f32 v[36:37], v[36:37], s[16:17], v[20:21] op_sel_hi:[1,0,1] neg_lo:[1,0,0] neg_hi:[1,0,0]
	v_pk_fma_f32 v[0:1], v[0:1], s[18:19], v[40:41]
	v_pk_fma_f32 v[38:39], v[38:39], s[4:5], v[44:45]
	v_pk_add_f32 v[0:1], v[0:1], v[36:37]
	v_pk_add_f32 v[38:39], v[48:49], v[38:39] op_sel:[1,0] op_sel_hi:[0,1]
	v_pk_add_f32 v[48:49], v[0:1], v[38:39]
	v_pk_add_f32 v[0:1], v[0:1], v[38:39] neg_lo:[0,1] neg_hi:[0,1]
	v_mad_i32_i24 v56, v8, 56, v28
	v_mov_b32_e32 v59, v65
	v_mov_b32_e32 v38, v48
	;; [unrolled: 1-line block ×3, first 2 shown]
	ds_write_b64 v27, v[58:59] offset:48
	ds_write2_b64 v56, v[20:21], v[38:39] offset1:1
	v_pk_add_f32 v[20:21], v[32:33], v[22:23] neg_lo:[0,1] neg_hi:[0,1]
	v_pk_add_f32 v[22:23], v[34:35], v[30:31] neg_lo:[0,1] neg_hi:[0,1]
	v_mov_b32_e32 v30, v46
	v_mov_b32_e32 v31, v41
	;; [unrolled: 1-line block ×4, first 2 shown]
	v_pk_fma_f32 v[30:31], v[20:21], s[14:15], v[30:31] op_sel_hi:[1,0,1] neg_lo:[1,0,1] neg_hi:[1,0,1]
	v_pk_fma_f32 v[32:33], v[22:23], s[12:13], v[32:33] op_sel_hi:[1,0,1] neg_lo:[1,0,1] neg_hi:[1,0,1]
	v_pk_add_f32 v[30:31], v[30:31], v[36:37]
	v_pk_fma_f32 v[32:33], v[42:43], s[0:1], v[32:33] op_sel_hi:[1,0,1]
	v_mov_b32_e32 v41, v47
	v_pk_add_f32 v[34:35], v[30:31], v[32:33] op_sel:[0,1] op_sel_hi:[1,0]
	v_pk_add_f32 v[30:31], v[30:31], v[32:33] op_sel:[0,1] op_sel_hi:[1,0] neg_lo:[0,1] neg_hi:[0,1]
	v_mov_b32_e32 v32, v51
	v_mov_b32_e32 v33, v44
	v_pk_fma_f32 v[20:21], v[20:21], s[14:15], v[40:41] op_sel_hi:[1,0,1] neg_lo:[0,0,1] neg_hi:[0,0,1]
	v_pk_fma_f32 v[22:23], v[22:23], s[12:13], v[32:33] op_sel_hi:[1,0,1] neg_lo:[0,0,1] neg_hi:[0,0,1]
	v_pk_add_f32 v[20:21], v[20:21], v[36:37]
	v_pk_fma_f32 v[22:23], v[42:43], s[0:1], v[22:23] op_sel_hi:[1,0,1]
	v_mov_b32_e32 v1, v49
	v_pk_add_f32 v[32:33], v[20:21], v[22:23] op_sel:[0,1] op_sel_hi:[1,0] neg_lo:[0,1] neg_hi:[0,1]
	v_pk_add_f32 v[20:21], v[20:21], v[22:23] op_sel:[0,1] op_sel_hi:[1,0]
	v_mov_b32_e32 v22, v34
	v_mov_b32_e32 v23, v31
	;; [unrolled: 1-line block ×4, first 2 shown]
	ds_write2_b64 v56, v[22:23], v[36:37] offset0:2 offset1:3
	v_mov_b32_e32 v23, 37
	v_mov_b32_e32 v21, v33
	;; [unrolled: 1-line block ×3, first 2 shown]
	v_mul_lo_u16_sdwa v27, v12, v23 dst_sel:DWORD dst_unused:UNUSED_PAD src0_sel:BYTE_0 src1_sel:DWORD
	ds_write2_b64 v56, v[20:21], v[30:31] offset0:4 offset1:5
	ds_write_b64 v56, v[0:1] offset:48
	v_mul_lo_u16_sdwa v0, v10, v23 dst_sel:DWORD dst_unused:UNUSED_PAD src0_sel:BYTE_0 src1_sel:DWORD
	v_sub_u16_sdwa v30, v12, v27 dst_sel:DWORD dst_unused:UNUSED_PAD src0_sel:DWORD src1_sel:BYTE_1
	v_sub_u16_sdwa v1, v10, v0 dst_sel:DWORD dst_unused:UNUSED_PAD src0_sel:DWORD src1_sel:BYTE_1
	v_lshrrev_b16_e32 v30, 1, v30
	v_lshrrev_b16_e32 v1, 1, v1
	v_and_b32_e32 v30, 0x7f, v30
	v_and_b32_e32 v1, 0x7f, v1
	v_add_u16_sdwa v27, v30, v27 dst_sel:DWORD dst_unused:UNUSED_PAD src0_sel:DWORD src1_sel:BYTE_1
	v_add_u16_sdwa v0, v1, v0 dst_sel:DWORD dst_unused:UNUSED_PAD src0_sel:DWORD src1_sel:BYTE_1
	v_lshrrev_b16_e32 v74, 2, v27
	v_lshrrev_b16_e32 v70, 2, v0
	v_mul_lo_u16_e32 v27, 7, v74
	v_mul_lo_u16_e32 v0, 7, v70
	v_mov_b32_e32 v22, 3
	v_sub_u16_e32 v27, v12, v27
	v_sub_u16_e32 v0, v10, v0
	v_lshlrev_b32_sdwa v75, v22, v27 dst_sel:DWORD dst_unused:UNUSED_PAD src0_sel:DWORD src1_sel:BYTE_0
	v_mul_lo_u16_sdwa v27, v8, v23 dst_sel:DWORD dst_unused:UNUSED_PAD src0_sel:BYTE_0 src1_sel:DWORD
	v_lshlrev_b32_sdwa v71, v22, v0 dst_sel:DWORD dst_unused:UNUSED_PAD src0_sel:DWORD src1_sel:BYTE_0
	v_mul_lo_u16_sdwa v0, v16, v23 dst_sel:DWORD dst_unused:UNUSED_PAD src0_sel:BYTE_0 src1_sel:DWORD
	v_sub_u16_sdwa v30, v8, v27 dst_sel:DWORD dst_unused:UNUSED_PAD src0_sel:DWORD src1_sel:BYTE_1
	v_sub_u16_sdwa v1, v16, v0 dst_sel:DWORD dst_unused:UNUSED_PAD src0_sel:DWORD src1_sel:BYTE_1
	v_lshrrev_b16_e32 v30, 1, v30
	v_lshrrev_b16_e32 v1, 1, v1
	v_and_b32_e32 v30, 0x7f, v30
	v_and_b32_e32 v1, 0x7f, v1
	v_add_u16_sdwa v27, v30, v27 dst_sel:DWORD dst_unused:UNUSED_PAD src0_sel:DWORD src1_sel:BYTE_1
	v_add_u16_sdwa v0, v1, v0 dst_sel:DWORD dst_unused:UNUSED_PAD src0_sel:DWORD src1_sel:BYTE_1
	v_lshrrev_b16_e32 v78, 2, v27
	v_lshrrev_b16_e32 v72, 2, v0
	v_mul_lo_u16_e32 v27, 7, v78
	v_mul_lo_u16_e32 v0, 7, v72
	v_sub_u16_e32 v27, v8, v27
	v_sub_u16_e32 v0, v16, v0
	v_mul_lo_u16_sdwa v31, v18, v23 dst_sel:DWORD dst_unused:UNUSED_PAD src0_sel:BYTE_0 src1_sel:DWORD
	v_lshlrev_b32_sdwa v79, v22, v27 dst_sel:DWORD dst_unused:UNUSED_PAD src0_sel:DWORD src1_sel:BYTE_0
	v_mul_lo_u16_sdwa v27, v4, v23 dst_sel:DWORD dst_unused:UNUSED_PAD src0_sel:BYTE_0 src1_sel:DWORD
	s_waitcnt lgkmcnt(0)
	; wave barrier
	s_waitcnt lgkmcnt(0)
	v_lshlrev_b32_sdwa v73, v22, v0 dst_sel:DWORD dst_unused:UNUSED_PAD src0_sel:DWORD src1_sel:BYTE_0
	global_load_dwordx2 v[0:1], v71, s[8:9]
	global_load_dwordx2 v[20:21], v73, s[8:9]
	v_sub_u16_sdwa v32, v18, v31 dst_sel:DWORD dst_unused:UNUSED_PAD src0_sel:DWORD src1_sel:BYTE_1
	v_sub_u16_sdwa v30, v4, v27 dst_sel:DWORD dst_unused:UNUSED_PAD src0_sel:DWORD src1_sel:BYTE_1
	v_lshrrev_b16_e32 v32, 1, v32
	v_lshrrev_b16_e32 v30, 1, v30
	v_and_b32_e32 v32, 0x7f, v32
	v_and_b32_e32 v30, 0x7f, v30
	v_add_u16_sdwa v31, v32, v31 dst_sel:DWORD dst_unused:UNUSED_PAD src0_sel:DWORD src1_sel:BYTE_1
	v_add_u16_sdwa v27, v30, v27 dst_sel:DWORD dst_unused:UNUSED_PAD src0_sel:DWORD src1_sel:BYTE_1
	v_lshrrev_b16_e32 v76, 2, v31
	v_lshrrev_b16_e32 v27, 2, v27
	v_mul_lo_u16_e32 v31, 7, v76
	v_mul_lo_u16_e32 v30, 7, v27
	v_sub_u16_e32 v31, v18, v31
	v_sub_u16_e32 v30, v4, v30
	v_lshlrev_b32_sdwa v77, v22, v31 dst_sel:DWORD dst_unused:UNUSED_PAD src0_sel:DWORD src1_sel:BYTE_0
	global_load_dwordx2 v[38:39], v75, s[8:9]
	global_load_dwordx2 v[40:41], v77, s[8:9]
	;; [unrolled: 1-line block ×3, first 2 shown]
	v_lshlrev_b32_sdwa v57, v22, v30 dst_sel:DWORD dst_unused:UNUSED_PAD src0_sel:DWORD src1_sel:BYTE_0
	v_mul_lo_u16_sdwa v23, v14, v23 dst_sel:DWORD dst_unused:UNUSED_PAD src0_sel:BYTE_0 src1_sel:DWORD
	global_load_dwordx2 v[44:45], v57, s[8:9]
	v_sub_u16_sdwa v30, v14, v23 dst_sel:DWORD dst_unused:UNUSED_PAD src0_sel:DWORD src1_sel:BYTE_1
	v_lshrrev_b16_e32 v30, 1, v30
	v_and_b32_e32 v30, 0x7f, v30
	v_add_u16_sdwa v23, v30, v23 dst_sel:DWORD dst_unused:UNUSED_PAD src0_sel:DWORD src1_sel:BYTE_1
	v_lshrrev_b16_e32 v23, 2, v23
	v_mul_lo_u16_e32 v30, 7, v23
	v_sub_u16_e32 v30, v14, v30
	v_lshlrev_b32_sdwa v80, v22, v30 dst_sel:DWORD dst_unused:UNUSED_PAD src0_sel:DWORD src1_sel:BYTE_0
	global_load_dwordx2 v[46:47], v80, s[8:9]
	ds_read2_b64 v[30:33], v25 offset0:176 offset1:192
	ds_read2_b64 v[34:37], v25 offset0:144 offset1:160
	s_movk_i32 s0, 0x70
	s_movk_i32 s1, 0xffd0
	s_waitcnt vmcnt(5) lgkmcnt(1)
	v_pk_mul_f32 v[48:49], v[32:33], v[20:21] op_sel:[0,1]
	s_nop 0
	v_pk_fma_f32 v[50:51], v[32:33], v[20:21], v[48:49] op_sel:[0,0,1] op_sel_hi:[1,1,0]
	v_pk_fma_f32 v[20:21], v[32:33], v[20:21], v[48:49] op_sel:[0,0,1] op_sel_hi:[1,0,0] neg_lo:[0,0,1] neg_hi:[0,0,1]
	v_pk_mul_f32 v[32:33], v[30:31], v[0:1] op_sel:[0,1]
	v_mov_b32_e32 v51, v21
	v_pk_fma_f32 v[48:49], v[30:31], v[0:1], v[32:33] op_sel:[0,0,1] op_sel_hi:[1,1,0]
	v_pk_fma_f32 v[0:1], v[30:31], v[0:1], v[32:33] op_sel:[0,0,1] op_sel_hi:[1,0,0] neg_lo:[0,0,1] neg_hi:[0,0,1]
	ds_read2_b64 v[30:33], v25 offset0:112 offset1:128
	v_mad_u32_u24 v0, v27, s0, 0
	v_add3_u32 v0, v0, v57, v26
	v_mad_i32_i24 v27, v8, s1, v56
	v_mov_b32_e32 v49, v1
	s_waitcnt vmcnt(4) lgkmcnt(1)
	v_pk_mul_f32 v[52:53], v[38:39], v[36:37] op_sel:[0,1]
	s_nop 0
	v_pk_fma_f32 v[54:55], v[38:39], v[36:37], v[52:53] op_sel:[0,0,1] op_sel_hi:[1,1,0]
	v_pk_fma_f32 v[36:37], v[38:39], v[36:37], v[52:53] op_sel:[0,0,1] op_sel_hi:[1,0,0] neg_lo:[1,0,0] neg_hi:[1,0,0]
	s_waitcnt vmcnt(3)
	v_pk_mul_f32 v[38:39], v[40:41], v[34:35] op_sel:[0,1]
	v_mov_b32_e32 v55, v37
	v_pk_fma_f32 v[52:53], v[40:41], v[34:35], v[38:39] op_sel:[0,0,1] op_sel_hi:[1,1,0]
	v_pk_fma_f32 v[34:35], v[40:41], v[34:35], v[38:39] op_sel:[0,0,1] op_sel_hi:[1,0,0] neg_lo:[1,0,0] neg_hi:[1,0,0]
	s_waitcnt vmcnt(2) lgkmcnt(0)
	v_pk_mul_f32 v[38:39], v[42:43], v[32:33] op_sel:[0,1]
	v_lshl_add_u32 v34, v18, 3, v28
	v_pk_fma_f32 v[40:41], v[42:43], v[32:33], v[38:39] op_sel:[0,0,1] op_sel_hi:[1,1,0]
	v_pk_fma_f32 v[38:39], v[42:43], v[32:33], v[38:39] op_sel:[0,0,1] op_sel_hi:[1,0,0] neg_lo:[1,0,0] neg_hi:[1,0,0]
	s_waitcnt vmcnt(1)
	v_pk_mul_f32 v[32:33], v[44:45], v[30:31] op_sel:[0,1]
	v_mov_b32_e32 v41, v39
	v_pk_fma_f32 v[42:43], v[44:45], v[30:31], v[32:33] op_sel:[0,0,1] op_sel_hi:[1,1,0]
	v_pk_fma_f32 v[30:31], v[44:45], v[30:31], v[32:33] op_sel:[0,0,1] op_sel_hi:[1,0,0] neg_lo:[1,0,0] neg_hi:[1,0,0]
	ds_read_b64 v[32:33], v29
	ds_read_b64 v[44:45], v34
	;; [unrolled: 1-line block ×3, first 2 shown]
	ds_read_b64 v[58:59], v25 offset:1664
	v_mov_b32_e32 v43, v31
	v_lshl_add_u32 v30, v14, 3, v28
	v_lshl_add_u32 v31, v16, 3, v28
	s_waitcnt lgkmcnt(3)
	v_pk_add_f32 v[42:43], v[32:33], v[42:43] neg_lo:[0,1] neg_hi:[0,1]
	v_mov_b32_e32 v53, v35
	v_pk_fma_f32 v[60:61], v[32:33], 2.0, v[42:43] op_sel_hi:[1,0,1] neg_lo:[0,0,1] neg_hi:[0,0,1]
	v_lshl_add_u32 v33, v12, 3, v28
	v_lshl_add_u32 v32, v10, 3, v28
	ds_read_b64 v[62:63], v30
	ds_read_b64 v[64:65], v31
	;; [unrolled: 1-line block ×4, first 2 shown]
	s_waitcnt lgkmcnt(0)
	; wave barrier
	s_waitcnt lgkmcnt(0)
	ds_write2_b64 v0, v[60:61], v[42:43] offset1:7
	s_waitcnt vmcnt(0)
	v_pk_mul_f32 v[42:43], v[58:59], v[46:47] op_sel:[0,1]
	v_mad_u32_u24 v0, v78, s0, 0
	v_pk_fma_f32 v[60:61], v[58:59], v[46:47], v[42:43] op_sel:[0,0,1] op_sel_hi:[1,1,0]
	v_pk_fma_f32 v[42:43], v[58:59], v[46:47], v[42:43] op_sel:[0,0,1] op_sel_hi:[1,0,0] neg_lo:[0,0,1] neg_hi:[0,0,1]
	v_add3_u32 v58, v0, v79, v26
	v_mad_u32_u24 v0, v76, s0, 0
	v_add3_u32 v59, v0, v77, v26
	v_mad_u32_u24 v0, v74, s0, 0
	;; [unrolled: 2-line block ×4, first 2 shown]
	v_mov_b32_e32 v61, v43
	v_add3_u32 v71, v0, v73, v26
	v_mad_u32_u24 v0, v23, s0, 0
	v_pk_add_f32 v[38:39], v[56:57], v[40:41] neg_lo:[0,1] neg_hi:[0,1]
	v_add3_u32 v23, v0, v80, v26
	v_pk_add_f32 v[0:1], v[62:63], v[60:61] neg_lo:[0,1] neg_hi:[0,1]
	v_pk_add_f32 v[36:37], v[64:65], v[50:51] neg_lo:[0,1] neg_hi:[0,1]
	;; [unrolled: 1-line block ×5, first 2 shown]
	v_pk_fma_f32 v[40:41], v[56:57], 2.0, v[38:39] op_sel_hi:[1,0,1] neg_lo:[0,0,1] neg_hi:[0,0,1]
	v_pk_fma_f32 v[20:21], v[62:63], 2.0, v[0:1] op_sel_hi:[1,0,1] neg_lo:[0,0,1] neg_hi:[0,0,1]
	;; [unrolled: 1-line block ×6, first 2 shown]
	ds_write2_b64 v58, v[40:41], v[38:39] offset1:7
	ds_write2_b64 v59, v[44:45], v[52:53] offset1:7
	;; [unrolled: 1-line block ×6, first 2 shown]
	v_mov_b32_e32 v23, 1
	v_lshrrev_b16_sdwa v0, v23, v10 dst_sel:DWORD dst_unused:UNUSED_PAD src0_sel:DWORD src1_sel:BYTE_0
	v_mul_lo_u16_e32 v0, 0x93, v0
	v_lshrrev_b16_e32 v35, 10, v0
	v_mul_lo_u16_e32 v20, 14, v35
	v_sub_u16_e32 v20, v10, v20
	v_lshlrev_b32_sdwa v76, v22, v20 dst_sel:DWORD dst_unused:UNUSED_PAD src0_sel:DWORD src1_sel:BYTE_0
	v_lshrrev_b16_sdwa v20, v23, v12 dst_sel:DWORD dst_unused:UNUSED_PAD src0_sel:DWORD src1_sel:BYTE_0
	v_mul_lo_u16_e32 v20, 0x93, v20
	v_lshrrev_b16_e32 v77, 10, v20
	v_lshrrev_b16_sdwa v0, v23, v16 dst_sel:DWORD dst_unused:UNUSED_PAD src0_sel:DWORD src1_sel:BYTE_0
	v_mul_lo_u16_e32 v20, 14, v77
	v_mul_lo_u16_e32 v0, 0x93, v0
	v_sub_u16_e32 v20, v12, v20
	v_lshrrev_b16_e32 v74, 10, v0
	v_lshlrev_b32_sdwa v78, v22, v20 dst_sel:DWORD dst_unused:UNUSED_PAD src0_sel:DWORD src1_sel:BYTE_0
	v_lshrrev_b16_sdwa v20, v23, v18 dst_sel:DWORD dst_unused:UNUSED_PAD src0_sel:DWORD src1_sel:BYTE_0
	v_mul_lo_u16_e32 v0, 14, v74
	v_mul_lo_u16_e32 v20, 0x93, v20
	v_sub_u16_e32 v0, v16, v0
	v_lshrrev_b16_e32 v79, 10, v20
	v_lshlrev_b32_sdwa v75, v22, v0 dst_sel:DWORD dst_unused:UNUSED_PAD src0_sel:DWORD src1_sel:BYTE_0
	v_mul_lo_u16_e32 v20, 14, v79
	s_waitcnt lgkmcnt(0)
	; wave barrier
	s_waitcnt lgkmcnt(0)
	global_load_dwordx2 v[0:1], v75, s[8:9] offset:56
	v_sub_u16_e32 v20, v18, v20
	v_lshlrev_b32_sdwa v80, v22, v20 dst_sel:DWORD dst_unused:UNUSED_PAD src0_sel:DWORD src1_sel:BYTE_0
	v_lshrrev_b16_sdwa v20, v23, v8 dst_sel:DWORD dst_unused:UNUSED_PAD src0_sel:DWORD src1_sel:BYTE_0
	v_mul_lo_u16_e32 v20, 0x93, v20
	v_lshrrev_b16_sdwa v23, v23, v14 dst_sel:DWORD dst_unused:UNUSED_PAD src0_sel:DWORD src1_sel:BYTE_0
	global_load_dwordx2 v[44:45], v76, s[8:9] offset:56
	global_load_dwordx2 v[46:47], v78, s[8:9] offset:56
	;; [unrolled: 1-line block ×3, first 2 shown]
	v_lshrrev_b16_e32 v81, 10, v20
	v_mul_lo_u16_e32 v23, 0x93, v23
	v_mul_lo_u16_e32 v20, 14, v81
	v_lshrrev_b16_e32 v23, 10, v23
	v_sub_u16_e32 v20, v8, v20
	v_mul_lo_u16_e32 v38, 14, v23
	v_lshlrev_b32_sdwa v82, v22, v20 dst_sel:DWORD dst_unused:UNUSED_PAD src0_sel:DWORD src1_sel:BYTE_0
	v_add_u32_e32 v20, -14, v4
	v_cmp_gt_u32_e64 s[0:1], 14, v4
	v_sub_u16_e32 v38, v14, v38
	v_mov_b32_e32 v21, 0
	v_cndmask_b32_e64 v20, v20, v4, s[0:1]
	global_load_dwordx2 v[50:51], v82, s[8:9] offset:56
	v_lshlrev_b32_sdwa v83, v22, v38 dst_sel:DWORD dst_unused:UNUSED_PAD src0_sel:DWORD src1_sel:BYTE_0
	v_lshl_add_u64 v[36:37], v[20:21], 3, s[8:9]
	global_load_dwordx2 v[52:53], v83, s[8:9] offset:56
	global_load_dwordx2 v[54:55], v[36:37], off offset:56
	ds_read2_b64 v[36:39], v25 offset0:176 offset1:192
	ds_read2_b64 v[40:43], v25 offset0:144 offset1:160
	v_cmp_lt_u32_e64 s[0:1], 13, v4
	v_lshlrev_b32_e32 v20, 3, v20
	v_lshl_add_u64 v[18:19], v[18:19], 3, s[8:9]
	s_waitcnt vmcnt(6) lgkmcnt(1)
	v_pk_mul_f32 v[56:57], v[38:39], v[0:1] op_sel:[0,1]
	s_nop 0
	v_pk_fma_f32 v[58:59], v[38:39], v[0:1], v[56:57] op_sel:[0,0,1] op_sel_hi:[1,1,0]
	v_pk_fma_f32 v[0:1], v[38:39], v[0:1], v[56:57] op_sel:[0,0,1] op_sel_hi:[1,0,0] neg_lo:[0,0,1] neg_hi:[0,0,1]
	s_waitcnt vmcnt(5)
	v_pk_mul_f32 v[38:39], v[44:45], v[36:37] op_sel:[0,1]
	s_nop 0
	v_pk_fma_f32 v[56:57], v[44:45], v[36:37], v[38:39] op_sel:[0,0,1] op_sel_hi:[1,1,0]
	v_pk_fma_f32 v[44:45], v[44:45], v[36:37], v[38:39] op_sel:[0,0,1] op_sel_hi:[1,0,0] neg_lo:[1,0,0] neg_hi:[1,0,0]
	ds_read2_b64 v[36:39], v25 offset0:112 offset1:128
	s_waitcnt vmcnt(4) lgkmcnt(1)
	v_pk_mul_f32 v[60:61], v[46:47], v[42:43] op_sel:[0,1]
	v_mov_b32_e32 v0, 0xe0
	v_pk_fma_f32 v[62:63], v[46:47], v[42:43], v[60:61] op_sel:[0,0,1] op_sel_hi:[1,1,0]
	v_pk_fma_f32 v[42:43], v[46:47], v[42:43], v[60:61] op_sel:[0,0,1] op_sel_hi:[1,0,0] neg_lo:[1,0,0] neg_hi:[1,0,0]
	s_waitcnt vmcnt(3)
	v_pk_mul_f32 v[46:47], v[48:49], v[40:41] op_sel:[0,1]
	v_cndmask_b32_e64 v0, 0, v0, s[0:1]
	v_pk_fma_f32 v[60:61], v[48:49], v[40:41], v[46:47] op_sel:[0,0,1] op_sel_hi:[1,1,0]
	v_pk_fma_f32 v[40:41], v[48:49], v[40:41], v[46:47] op_sel:[0,0,1] op_sel_hi:[1,0,0] neg_lo:[1,0,0] neg_hi:[1,0,0]
	v_add_u32_e32 v0, 0, v0
	v_add3_u32 v0, v0, v20, v26
	s_movk_i32 s0, 0xe0
	s_waitcnt vmcnt(2) lgkmcnt(0)
	v_pk_mul_f32 v[46:47], v[50:51], v[38:39] op_sel:[0,1]
	v_mov_b32_e32 v59, v1
	v_pk_fma_f32 v[48:49], v[50:51], v[38:39], v[46:47] op_sel:[0,0,1] op_sel_hi:[1,1,0]
	v_pk_fma_f32 v[38:39], v[50:51], v[38:39], v[46:47] op_sel:[0,0,1] op_sel_hi:[1,0,0] neg_lo:[1,0,0] neg_hi:[1,0,0]
	s_waitcnt vmcnt(0)
	v_pk_mul_f32 v[46:47], v[54:55], v[36:37] op_sel:[0,1]
	v_mov_b32_e32 v49, v39
	v_pk_fma_f32 v[50:51], v[54:55], v[36:37], v[46:47] op_sel:[0,0,1] op_sel_hi:[1,1,0]
	v_pk_fma_f32 v[36:37], v[54:55], v[36:37], v[46:47] op_sel:[0,0,1] op_sel_hi:[1,0,0] neg_lo:[1,0,0] neg_hi:[1,0,0]
	v_mov_b32_e32 v57, v45
	v_mov_b32_e32 v51, v37
	ds_read_b64 v[36:37], v29
	ds_read_b64 v[46:47], v34
	ds_read_b64 v[54:55], v27
	ds_read_b64 v[64:65], v25 offset:1664
	ds_read_b64 v[66:67], v30
	ds_read_b64 v[68:69], v31
	;; [unrolled: 1-line block ×4, first 2 shown]
	s_waitcnt lgkmcnt(0)
	; wave barrier
	s_waitcnt lgkmcnt(0)
	v_pk_add_f32 v[50:51], v[36:37], v[50:51] neg_lo:[0,1] neg_hi:[0,1]
	v_mov_b32_e32 v63, v43
	v_pk_fma_f32 v[36:37], v[36:37], 2.0, v[50:51] op_sel_hi:[1,0,1] neg_lo:[0,0,1] neg_hi:[0,0,1]
	ds_write2_b64 v0, v[36:37], v[50:51] offset1:14
	v_mad_u32_u24 v0, v81, s0, 0
	v_pk_mul_f32 v[36:37], v[64:65], v[52:53] op_sel:[0,1]
	v_add3_u32 v20, v0, v82, v26
	v_mad_u32_u24 v0, v79, s0, 0
	v_pk_fma_f32 v[50:51], v[64:65], v[52:53], v[36:37] op_sel:[0,0,1] op_sel_hi:[1,1,0]
	v_pk_fma_f32 v[36:37], v[64:65], v[52:53], v[36:37] op_sel:[0,0,1] op_sel_hi:[1,0,0] neg_lo:[0,0,1] neg_hi:[0,0,1]
	v_add3_u32 v64, v0, v80, v26
	v_mad_u32_u24 v0, v77, s0, 0
	v_add3_u32 v65, v0, v78, v26
	v_mad_u32_u24 v0, v35, s0, 0
	;; [unrolled: 2-line block ×3, first 2 shown]
	v_mov_b32_e32 v51, v37
	v_mov_b32_e32 v61, v41
	v_add3_u32 v74, v0, v75, v26
	v_mad_u32_u24 v0, v23, s0, 0
	v_pk_add_f32 v[38:39], v[54:55], v[48:49] neg_lo:[0,1] neg_hi:[0,1]
	v_add3_u32 v23, v0, v83, v26
	v_pk_add_f32 v[0:1], v[66:67], v[50:51] neg_lo:[0,1] neg_hi:[0,1]
	v_pk_add_f32 v[40:41], v[68:69], v[58:59] neg_lo:[0,1] neg_hi:[0,1]
	;; [unrolled: 1-line block ×5, first 2 shown]
	v_pk_fma_f32 v[48:49], v[54:55], 2.0, v[38:39] op_sel_hi:[1,0,1] neg_lo:[0,0,1] neg_hi:[0,0,1]
	v_pk_fma_f32 v[36:37], v[66:67], 2.0, v[0:1] op_sel_hi:[1,0,1] neg_lo:[0,0,1] neg_hi:[0,0,1]
	;; [unrolled: 1-line block ×6, first 2 shown]
	ds_write2_b64 v20, v[48:49], v[38:39] offset1:14
	ds_write2_b64 v64, v[46:47], v[58:59] offset1:14
	;; [unrolled: 1-line block ×6, first 2 shown]
	v_mov_b32_e32 v23, 2
	v_lshrrev_b16_sdwa v1, v23, v16 dst_sel:DWORD dst_unused:UNUSED_PAD src0_sel:DWORD src1_sel:BYTE_0
	v_mul_lo_u16_e32 v1, 37, v1
	v_lshrrev_b16_sdwa v0, v23, v10 dst_sel:DWORD dst_unused:UNUSED_PAD src0_sel:DWORD src1_sel:BYTE_0
	v_lshrrev_b16_e32 v74, 8, v1
	v_mul_lo_u16_e32 v0, 37, v0
	v_mov_b32_e32 v35, 28
	v_mul_lo_u16_e32 v1, 28, v74
	v_mul_lo_u16_sdwa v0, v0, v35 dst_sel:DWORD dst_unused:UNUSED_PAD src0_sel:BYTE_1 src1_sel:DWORD
	v_sub_u16_e32 v1, v16, v1
	v_lshlrev_b32_sdwa v75, v22, v1 dst_sel:DWORD dst_unused:UNUSED_PAD src0_sel:DWORD src1_sel:BYTE_0
	v_sub_u16_e32 v0, v10, v0
	s_waitcnt lgkmcnt(0)
	; wave barrier
	s_waitcnt lgkmcnt(0)
	global_load_dwordx2 v[44:45], v75, s[8:9] offset:168
	v_lshlrev_b32_sdwa v76, v22, v0 dst_sel:DWORD dst_unused:UNUSED_PAD src0_sel:DWORD src1_sel:BYTE_0
	global_load_dwordx2 v[46:47], v76, s[8:9] offset:168
	v_lshl_add_u64 v[0:1], v[4:5], 3, s[8:9]
	v_lshrrev_b16_sdwa v5, v23, v12 dst_sel:DWORD dst_unused:UNUSED_PAD src0_sel:DWORD src1_sel:BYTE_0
	v_mul_lo_u16_e32 v5, 37, v5
	v_lshrrev_b16_e32 v5, 8, v5
	v_mul_lo_u16_e32 v20, 28, v5
	v_lshrrev_b16_sdwa v23, v23, v14 dst_sel:DWORD dst_unused:UNUSED_PAD src0_sel:DWORD src1_sel:BYTE_0
	v_sub_u16_e32 v20, v12, v20
	v_mul_lo_u16_e32 v23, 37, v23
	v_lshlrev_b32_sdwa v77, v22, v20 dst_sel:DWORD dst_unused:UNUSED_PAD src0_sel:DWORD src1_sel:BYTE_0
	v_mul_lo_u16_sdwa v23, v23, v35 dst_sel:DWORD dst_unused:UNUSED_PAD src0_sel:BYTE_1 src1_sel:DWORD
	global_load_dwordx2 v[48:49], v[0:1], off offset:200
	global_load_dwordx2 v[50:51], v[0:1], off offset:168
	v_add_u32_e32 v20, -12, v4
	v_cmp_gt_u32_e64 s[0:1], 28, v8
	global_load_dwordx2 v[52:53], v77, s[8:9] offset:168
	v_sub_u16_e32 v23, v14, v23
	v_cndmask_b32_e64 v20, v20, v8, s[0:1]
	v_lshlrev_b32_sdwa v35, v22, v23 dst_sel:DWORD dst_unused:UNUSED_PAD src0_sel:DWORD src1_sel:BYTE_0
	v_lshl_add_u64 v[36:37], v[20:21], 3, s[8:9]
	global_load_dwordx2 v[22:23], v35, s[8:9] offset:168
	global_load_dwordx2 v[54:55], v[36:37], off offset:168
	ds_read2_b64 v[36:39], v25 offset0:176 offset1:192
	ds_read2_b64 v[40:43], v25 offset0:144 offset1:160
	v_cmp_lt_u32_e64 s[0:1], 27, v8
	v_lshlrev_b32_e32 v20, 3, v20
	v_add_u32_e32 v35, v28, v35
	s_waitcnt vmcnt(6) lgkmcnt(1)
	v_pk_mul_f32 v[56:57], v[38:39], v[44:45] op_sel:[0,1]
	s_nop 0
	v_pk_fma_f32 v[58:59], v[38:39], v[44:45], v[56:57] op_sel:[0,0,1] op_sel_hi:[1,1,0]
	v_pk_fma_f32 v[44:45], v[38:39], v[44:45], v[56:57] op_sel:[0,0,1] op_sel_hi:[1,0,0] neg_lo:[0,0,1] neg_hi:[0,0,1]
	s_waitcnt vmcnt(5)
	v_pk_mul_f32 v[38:39], v[46:47], v[36:37] op_sel:[0,1]
	v_mov_b32_e32 v59, v45
	v_pk_fma_f32 v[56:57], v[46:47], v[36:37], v[38:39] op_sel:[0,0,1] op_sel_hi:[1,1,0]
	v_pk_fma_f32 v[46:47], v[46:47], v[36:37], v[38:39] op_sel:[0,0,1] op_sel_hi:[1,0,0] neg_lo:[1,0,0] neg_hi:[1,0,0]
	ds_read2_b64 v[36:39], v25 offset0:112 offset1:128
	v_mov_b32_e32 v57, v47
	s_waitcnt vmcnt(4) lgkmcnt(1)
	v_pk_mul_f32 v[60:61], v[48:49], v[40:41] op_sel:[0,1]
	s_nop 0
	v_pk_fma_f32 v[62:63], v[48:49], v[40:41], v[60:61] op_sel:[0,0,1] op_sel_hi:[1,1,0]
	v_pk_fma_f32 v[40:41], v[48:49], v[40:41], v[60:61] op_sel:[0,0,1] op_sel_hi:[1,0,0] neg_lo:[1,0,0] neg_hi:[1,0,0]
	s_waitcnt vmcnt(2)
	v_pk_mul_f32 v[48:49], v[52:53], v[42:43] op_sel:[0,1]
	s_nop 0
	v_pk_fma_f32 v[60:61], v[52:53], v[42:43], v[48:49] op_sel:[0,0,1] op_sel_hi:[1,1,0]
	v_pk_fma_f32 v[42:43], v[52:53], v[42:43], v[48:49] op_sel:[0,0,1] op_sel_hi:[1,0,0] neg_lo:[1,0,0] neg_hi:[1,0,0]
	s_waitcnt lgkmcnt(0)
	v_pk_mul_f32 v[48:49], v[50:51], v[36:37] op_sel:[0,1]
	v_mov_b32_e32 v63, v41
	v_pk_fma_f32 v[52:53], v[50:51], v[36:37], v[48:49] op_sel:[0,0,1] op_sel_hi:[1,1,0]
	v_pk_fma_f32 v[36:37], v[50:51], v[36:37], v[48:49] op_sel:[0,0,1] op_sel_hi:[1,0,0] neg_lo:[1,0,0] neg_hi:[1,0,0]
	s_waitcnt vmcnt(0)
	v_pk_mul_f32 v[48:49], v[54:55], v[38:39] op_sel:[0,1]
	v_mov_b32_e32 v53, v37
	v_pk_fma_f32 v[50:51], v[54:55], v[38:39], v[48:49] op_sel:[0,0,1] op_sel_hi:[1,1,0]
	v_pk_fma_f32 v[38:39], v[54:55], v[38:39], v[48:49] op_sel:[0,0,1] op_sel_hi:[1,0,0] neg_lo:[1,0,0] neg_hi:[1,0,0]
	ds_read_b64 v[48:49], v25 offset:1664
	ds_read_b64 v[54:55], v29
	ds_read_b64 v[64:65], v27
	;; [unrolled: 1-line block ×4, first 2 shown]
	s_waitcnt lgkmcnt(4)
	v_pk_mul_f32 v[70:71], v[48:49], v[22:23] op_sel:[0,1]
	s_waitcnt lgkmcnt(3)
	v_pk_add_f32 v[36:37], v[54:55], v[52:53] neg_lo:[0,1] neg_hi:[0,1]
	v_pk_fma_f32 v[72:73], v[48:49], v[22:23], v[70:71] op_sel:[0,0,1] op_sel_hi:[1,1,0]
	v_pk_fma_f32 v[22:23], v[48:49], v[22:23], v[70:71] op_sel:[0,0,1] op_sel_hi:[1,0,0] neg_lo:[0,0,1] neg_hi:[0,0,1]
	v_pk_fma_f32 v[48:49], v[54:55], 2.0, v[36:37] op_sel_hi:[1,0,1] neg_lo:[0,0,1] neg_hi:[0,0,1]
	ds_read_b64 v[52:53], v30
	ds_read_b64 v[54:55], v31
	;; [unrolled: 1-line block ×3, first 2 shown]
	v_mov_b32_e32 v22, 0x1c0
	v_cndmask_b32_e64 v22, 0, v22, s[0:1]
	v_add_u32_e32 v22, 0, v22
	s_movk_i32 s0, 0x1c0
	v_mov_b32_e32 v51, v39
	v_mov_b32_e32 v73, v23
	;; [unrolled: 1-line block ×3, first 2 shown]
	v_add3_u32 v20, v22, v20, v26
	v_mad_u32_u24 v22, v74, s0, 0
	s_waitcnt lgkmcnt(1)
	v_pk_add_f32 v[44:45], v[54:55], v[58:59] neg_lo:[0,1] neg_hi:[0,1]
	v_pk_add_f32 v[38:39], v[64:65], v[50:51] neg_lo:[0,1] neg_hi:[0,1]
	s_waitcnt lgkmcnt(0)
	; wave barrier
	s_waitcnt lgkmcnt(0)
	ds_write2_b64 v25, v[48:49], v[36:37] offset1:28
	v_mad_u32_u24 v5, v5, s0, 0
	v_add3_u32 v74, v22, v75, v26
	v_pk_add_f32 v[22:23], v[68:69], v[62:63] neg_lo:[0,1] neg_hi:[0,1]
	v_pk_add_f32 v[40:41], v[52:53], v[72:73] neg_lo:[0,1] neg_hi:[0,1]
	v_pk_fma_f32 v[46:47], v[54:55], 2.0, v[44:45] op_sel_hi:[1,0,1] neg_lo:[0,0,1] neg_hi:[0,0,1]
	v_pk_add_f32 v[48:49], v[70:71], v[56:57] neg_lo:[0,1] neg_hi:[0,1]
	v_pk_add_f32 v[54:55], v[66:67], v[60:61] neg_lo:[0,1] neg_hi:[0,1]
	v_pk_fma_f32 v[50:51], v[64:65], 2.0, v[38:39] op_sel_hi:[1,0,1] neg_lo:[0,0,1] neg_hi:[0,0,1]
	v_add3_u32 v5, v5, v77, v26
	v_pk_fma_f32 v[36:37], v[68:69], 2.0, v[22:23] op_sel_hi:[1,0,1] neg_lo:[0,0,1] neg_hi:[0,0,1]
	v_add_u32_e32 v62, v28, v76
	v_pk_fma_f32 v[42:43], v[52:53], 2.0, v[40:41] op_sel_hi:[1,0,1] neg_lo:[0,0,1] neg_hi:[0,0,1]
	v_pk_fma_f32 v[52:53], v[70:71], 2.0, v[48:49] op_sel_hi:[1,0,1] neg_lo:[0,0,1] neg_hi:[0,0,1]
	;; [unrolled: 1-line block ×3, first 2 shown]
	ds_write2_b64 v20, v[50:51], v[38:39] offset1:28
	ds_write2_b64 v25, v[36:37], v[22:23] offset0:60 offset1:88
	ds_write2_b64 v5, v[56:57], v[54:55] offset1:28
	ds_write2_b64 v62, v[52:53], v[48:49] offset0:112 offset1:140
	ds_write2_b64 v74, v[46:47], v[44:45] offset1:28
	ds_write2_b64 v35, v[42:43], v[40:41] offset0:168 offset1:196
	v_lshl_add_u64 v[22:23], v[8:9], 3, s[8:9]
	s_waitcnt lgkmcnt(0)
	; wave barrier
	s_waitcnt lgkmcnt(0)
	global_load_dwordx2 v[44:45], v[22:23], off offset:392
	global_load_dwordx2 v[46:47], v[0:1], off offset:392
	global_load_dwordx2 v[48:49], v[0:1], off offset:456
	global_load_dwordx2 v[50:51], v[0:1], off offset:584
	global_load_dwordx2 v[52:53], v[18:19], off offset:392
	global_load_dwordx2 v[54:55], v[0:1], off offset:712
	v_add_u32_e32 v5, -8, v4
	v_cmp_gt_u32_e64 s[0:1], 56, v12
	s_nop 1
	v_cndmask_b32_e64 v20, v5, v12, s[0:1]
	v_lshl_add_u64 v[36:37], v[20:21], 3, s[8:9]
	global_load_dwordx2 v[56:57], v[36:37], off offset:392
	ds_read2_b64 v[36:39], v25 offset0:112 offset1:128
	ds_read2_b64 v[40:43], v25 offset0:176 offset1:192
	v_lshlrev_b32_e32 v9, 3, v20
	v_mov_b32_e32 v5, 0x380
	v_cmp_lt_u32_e64 s[0:1], 55, v12
	s_waitcnt vmcnt(6) lgkmcnt(1)
	v_pk_mul_f32 v[58:59], v[44:45], v[38:39] op_sel:[0,1]
	s_nop 0
	v_pk_fma_f32 v[60:61], v[44:45], v[38:39], v[58:59] op_sel:[0,0,1] op_sel_hi:[1,1,0]
	v_pk_fma_f32 v[44:45], v[44:45], v[38:39], v[58:59] op_sel:[0,0,1] op_sel_hi:[1,0,0] neg_lo:[1,0,0] neg_hi:[1,0,0]
	s_waitcnt vmcnt(5)
	v_pk_mul_f32 v[38:39], v[46:47], v[36:37] op_sel:[0,1]
	s_waitcnt vmcnt(4) lgkmcnt(0)
	v_pk_mul_f32 v[62:63], v[48:49], v[40:41] op_sel:[0,1]
	v_pk_fma_f32 v[58:59], v[46:47], v[36:37], v[38:39] op_sel:[0,0,1] op_sel_hi:[1,1,0]
	v_pk_fma_f32 v[46:47], v[46:47], v[36:37], v[38:39] op_sel:[0,0,1] op_sel_hi:[1,0,0] neg_lo:[1,0,0] neg_hi:[1,0,0]
	ds_read2_b64 v[36:39], v25 offset0:144 offset1:160
	v_pk_fma_f32 v[64:65], v[48:49], v[40:41], v[62:63] op_sel:[0,0,1] op_sel_hi:[1,1,0]
	v_pk_fma_f32 v[40:41], v[48:49], v[40:41], v[62:63] op_sel:[0,0,1] op_sel_hi:[1,0,0] neg_lo:[1,0,0] neg_hi:[1,0,0]
	s_waitcnt vmcnt(3)
	v_pk_mul_f32 v[48:49], v[42:43], v[50:51] op_sel:[0,1]
	v_mov_b32_e32 v61, v45
	v_pk_fma_f32 v[62:63], v[42:43], v[50:51], v[48:49] op_sel:[0,0,1] op_sel_hi:[1,1,0]
	v_pk_fma_f32 v[42:43], v[42:43], v[50:51], v[48:49] op_sel:[0,0,1] op_sel_hi:[1,0,0] neg_lo:[0,0,1] neg_hi:[0,0,1]
	s_waitcnt vmcnt(2) lgkmcnt(0)
	v_pk_mul_f32 v[48:49], v[52:53], v[36:37] op_sel:[0,1]
	v_mov_b32_e32 v59, v47
	v_pk_fma_f32 v[50:51], v[52:53], v[36:37], v[48:49] op_sel:[0,0,1] op_sel_hi:[1,1,0]
	v_pk_fma_f32 v[36:37], v[52:53], v[36:37], v[48:49] op_sel:[0,0,1] op_sel_hi:[1,0,0] neg_lo:[1,0,0] neg_hi:[1,0,0]
	ds_read_b64 v[48:49], v25 offset:1664
	v_mov_b32_e32 v51, v37
	ds_read_b64 v[36:37], v33
	ds_read_b64 v[44:45], v34
	;; [unrolled: 1-line block ×4, first 2 shown]
	v_mov_b32_e32 v65, v41
	s_waitcnt vmcnt(1) lgkmcnt(4)
	v_pk_mul_f32 v[52:53], v[48:49], v[54:55] op_sel:[0,1]
	ds_read_b64 v[40:41], v32
	v_pk_fma_f32 v[66:67], v[48:49], v[54:55], v[52:53] op_sel:[0,0,1] op_sel_hi:[1,1,0]
	v_pk_fma_f32 v[48:49], v[48:49], v[54:55], v[52:53] op_sel:[0,0,1] op_sel_hi:[1,0,0] neg_lo:[0,0,1] neg_hi:[0,0,1]
	v_mov_b32_e32 v63, v43
	ds_read_b64 v[42:43], v31
	v_mov_b32_e32 v67, v49
	ds_read_b64 v[48:49], v30
	s_waitcnt vmcnt(0)
	v_pk_mul_f32 v[52:53], v[56:57], v[38:39] op_sel:[0,1]
	v_cndmask_b32_e64 v5, 0, v5, s[0:1]
	v_pk_fma_f32 v[54:55], v[56:57], v[38:39], v[52:53] op_sel:[0,0,1] op_sel_hi:[1,1,0]
	v_pk_fma_f32 v[38:39], v[56:57], v[38:39], v[52:53] op_sel:[0,0,1] op_sel_hi:[1,0,0] neg_lo:[1,0,0] neg_hi:[1,0,0]
	s_waitcnt lgkmcnt(4)
	v_pk_add_f32 v[52:53], v[46:47], v[60:61] neg_lo:[0,1] neg_hi:[0,1]
	s_waitcnt lgkmcnt(3)
	v_pk_add_f32 v[56:57], v[20:21], v[58:59] neg_lo:[0,1] neg_hi:[0,1]
	;; [unrolled: 2-line block ×4, first 2 shown]
	v_mov_b32_e32 v55, v39
	v_add_u32_e32 v5, 0, v5
	v_pk_add_f32 v[50:51], v[44:45], v[50:51] neg_lo:[0,1] neg_hi:[0,1]
	v_pk_add_f32 v[58:59], v[40:41], v[64:65] neg_lo:[0,1] neg_hi:[0,1]
	v_pk_fma_f32 v[48:49], v[48:49], 2.0, v[62:63] op_sel_hi:[1,0,1] neg_lo:[0,0,1] neg_hi:[0,0,1]
	v_pk_fma_f32 v[20:21], v[20:21], 2.0, v[56:57] op_sel_hi:[1,0,1] neg_lo:[0,0,1] neg_hi:[0,0,1]
	v_pk_add_f32 v[38:39], v[36:37], v[54:55] neg_lo:[0,1] neg_hi:[0,1]
	v_add3_u32 v5, v5, v9, v26
	v_pk_fma_f32 v[40:41], v[40:41], 2.0, v[58:59] op_sel_hi:[1,0,1] neg_lo:[0,0,1] neg_hi:[0,0,1]
	v_pk_fma_f32 v[42:43], v[42:43], 2.0, v[60:61] op_sel_hi:[1,0,1] neg_lo:[0,0,1] neg_hi:[0,0,1]
	;; [unrolled: 1-line block ×5, first 2 shown]
	s_waitcnt lgkmcnt(0)
	; wave barrier
	ds_write2_b64 v25, v[20:21], v[56:57] offset1:56
	ds_write2_b64 v27, v[46:47], v[52:53] offset1:56
	;; [unrolled: 1-line block ×4, first 2 shown]
	ds_write2_b64 v25, v[40:41], v[42:43] offset0:120 offset1:136
	ds_write2_b64 v25, v[48:49], v[58:59] offset0:152 offset1:176
	;; [unrolled: 1-line block ×3, first 2 shown]
	s_waitcnt lgkmcnt(0)
	; wave barrier
	s_waitcnt lgkmcnt(0)
	v_lshl_add_u64 v[20:21], v[12:13], 3, s[8:9]
	global_load_dwordx2 v[48:49], v[22:23], off offset:840
	global_load_dwordx2 v[50:51], v[18:19], off offset:840
	global_load_dwordx2 v[52:53], v[20:21], off offset:840
	global_load_dwordx2 v[54:55], v[0:1], off offset:840
	v_lshl_add_u64 v[12:13], v[16:17], 3, s[8:9]
	v_lshl_add_u64 v[16:17], v[10:11], 3, s[8:9]
	global_load_dwordx2 v[56:57], v[12:13], off offset:840
	v_lshl_add_u64 v[10:11], v[14:15], 3, s[8:9]
	global_load_dwordx2 v[14:15], v[10:11], off offset:840
	global_load_dwordx2 v[58:59], v[16:17], off offset:840
	ds_read2_b64 v[36:39], v25 offset0:112 offset1:128
	ds_read2_b64 v[40:43], v25 offset0:144 offset1:160
	;; [unrolled: 1-line block ×3, first 2 shown]
	v_sub_u32_e32 v5, v28, v24
	v_cmp_ne_u32_e64 s[0:1], 0, v4
	s_waitcnt vmcnt(6) lgkmcnt(2)
	v_pk_mul_f32 v[60:61], v[48:49], v[38:39] op_sel:[0,1]
	s_nop 0
	v_pk_fma_f32 v[62:63], v[48:49], v[38:39], v[60:61] op_sel:[0,0,1] op_sel_hi:[1,1,0]
	v_pk_fma_f32 v[38:39], v[48:49], v[38:39], v[60:61] op_sel:[0,0,1] op_sel_hi:[1,0,0] neg_lo:[1,0,0] neg_hi:[1,0,0]
	s_waitcnt vmcnt(3)
	v_pk_mul_f32 v[48:49], v[54:55], v[36:37] op_sel:[0,1]
	v_mov_b32_e32 v63, v39
	v_pk_fma_f32 v[60:61], v[54:55], v[36:37], v[48:49] op_sel:[0,0,1] op_sel_hi:[1,1,0]
	v_pk_fma_f32 v[36:37], v[54:55], v[36:37], v[48:49] op_sel:[0,0,1] op_sel_hi:[1,0,0] neg_lo:[1,0,0] neg_hi:[1,0,0]
	s_waitcnt vmcnt(2) lgkmcnt(0)
	v_pk_mul_f32 v[48:49], v[46:47], v[56:57] op_sel:[0,1]
	v_mov_b32_e32 v61, v37
	v_pk_fma_f32 v[54:55], v[46:47], v[56:57], v[48:49] op_sel:[0,0,1] op_sel_hi:[1,1,0]
	v_pk_fma_f32 v[46:47], v[46:47], v[56:57], v[48:49] op_sel:[0,0,1] op_sel_hi:[1,0,0] neg_lo:[0,0,1] neg_hi:[0,0,1]
	s_waitcnt vmcnt(0)
	v_pk_mul_f32 v[48:49], v[58:59], v[44:45] op_sel:[0,1]
	v_mov_b32_e32 v55, v47
	v_pk_fma_f32 v[56:57], v[58:59], v[44:45], v[48:49] op_sel:[0,0,1] op_sel_hi:[1,1,0]
	v_pk_fma_f32 v[44:45], v[58:59], v[44:45], v[48:49] op_sel:[0,0,1] op_sel_hi:[1,0,0] neg_lo:[1,0,0] neg_hi:[1,0,0]
	v_pk_mul_f32 v[48:49], v[50:51], v[40:41] op_sel:[0,1]
	v_mov_b32_e32 v57, v45
	v_pk_fma_f32 v[58:59], v[50:51], v[40:41], v[48:49] op_sel:[0,0,1] op_sel_hi:[1,1,0]
	v_pk_fma_f32 v[40:41], v[50:51], v[40:41], v[48:49] op_sel:[0,0,1] op_sel_hi:[1,0,0] neg_lo:[1,0,0] neg_hi:[1,0,0]
	ds_read_b64 v[48:49], v25 offset:1664
	v_mov_b32_e32 v59, v41
	v_pk_mul_f32 v[40:41], v[52:53], v[42:43] op_sel:[0,1]
	s_waitcnt lgkmcnt(0)
	v_pk_mul_f32 v[66:67], v[48:49], v[14:15] op_sel:[0,1]
	v_pk_fma_f32 v[50:51], v[52:53], v[42:43], v[40:41] op_sel:[0,0,1] op_sel_hi:[1,1,0]
	v_pk_fma_f32 v[40:41], v[52:53], v[42:43], v[40:41] op_sel:[0,0,1] op_sel_hi:[1,0,0] neg_lo:[1,0,0] neg_hi:[1,0,0]
	ds_read_b64 v[42:43], v33
	ds_read_b64 v[52:53], v34
	;; [unrolled: 1-line block ×3, first 2 shown]
	v_pk_fma_f32 v[68:69], v[48:49], v[14:15], v[66:67] op_sel:[0,0,1] op_sel_hi:[1,1,0]
	v_pk_fma_f32 v[14:15], v[48:49], v[14:15], v[66:67] op_sel:[0,0,1] op_sel_hi:[1,0,0] neg_lo:[0,0,1] neg_hi:[0,0,1]
	ds_read_b64 v[38:39], v29
	ds_read_b64 v[36:37], v30
	v_mov_b32_e32 v69, v15
	ds_read_b64 v[14:15], v31
	ds_read_b64 v[46:47], v32
	s_waitcnt lgkmcnt(5)
	v_pk_add_f32 v[48:49], v[52:53], v[58:59] neg_lo:[0,1] neg_hi:[0,1]
	s_waitcnt lgkmcnt(4)
	v_pk_add_f32 v[58:59], v[64:65], v[62:63] neg_lo:[0,1] neg_hi:[0,1]
	;; [unrolled: 2-line block ×3, first 2 shown]
	v_mov_b32_e32 v51, v41
	v_pk_fma_f32 v[62:63], v[64:65], 2.0, v[58:59] op_sel_hi:[1,0,1] neg_lo:[0,0,1] neg_hi:[0,0,1]
	v_pk_fma_f32 v[38:39], v[38:39], 2.0, v[60:61] op_sel_hi:[1,0,1] neg_lo:[0,0,1] neg_hi:[0,0,1]
	s_waitcnt lgkmcnt(2)
	v_pk_add_f32 v[64:65], v[36:37], v[68:69] neg_lo:[0,1] neg_hi:[0,1]
	s_waitcnt lgkmcnt(1)
	v_pk_add_f32 v[54:55], v[14:15], v[54:55] neg_lo:[0,1] neg_hi:[0,1]
	s_waitcnt lgkmcnt(0)
	v_pk_add_f32 v[44:45], v[46:47], v[56:57] neg_lo:[0,1] neg_hi:[0,1]
	v_pk_add_f32 v[40:41], v[42:43], v[50:51] neg_lo:[0,1] neg_hi:[0,1]
	v_pk_fma_f32 v[52:53], v[52:53], 2.0, v[48:49] op_sel_hi:[1,0,1] neg_lo:[0,0,1] neg_hi:[0,0,1]
	v_pk_fma_f32 v[36:37], v[36:37], 2.0, v[64:65] op_sel_hi:[1,0,1] neg_lo:[0,0,1] neg_hi:[0,0,1]
	;; [unrolled: 1-line block ×5, first 2 shown]
	s_waitcnt lgkmcnt(0)
	; wave barrier
	ds_write2_b64 v25, v[38:39], v[60:61] offset1:112
	ds_write2_b64 v27, v[62:63], v[58:59] offset1:112
	;; [unrolled: 1-line block ×7, first 2 shown]
	s_waitcnt lgkmcnt(0)
	; wave barrier
	s_waitcnt lgkmcnt(0)
	ds_read_b64 v[26:27], v29
                                        ; implicit-def: $vgpr15
                                        ; implicit-def: $vgpr24_vgpr25
	s_and_saveexec_b64 s[4:5], s[0:1]
	s_xor_b64 s[0:1], exec, s[4:5]
	s_cbranch_execz .LBB0_15
; %bb.14:
	global_load_dwordx2 v[0:1], v[0:1], off offset:1736
	ds_read_b64 v[14:15], v5 offset:1792
	v_mov_b32_e32 v25, 0.5
	v_mov_b32_e32 v36, v25
	s_waitcnt lgkmcnt(0)
	v_pk_add_f32 v[38:39], v[14:15], v[26:27]
	v_pk_add_f32 v[14:15], v[26:27], v[14:15] neg_lo:[0,1] neg_hi:[0,1]
	v_mov_b32_e32 v26, v39
	v_mov_b32_e32 v27, v14
	v_pk_mul_f32 v[26:27], v[26:27], 0.5 op_sel_hi:[1,0]
	s_waitcnt vmcnt(0)
	v_mov_b32_e32 v24, v1
	v_mov_b32_e32 v14, v27
	v_mov_b32_e32 v39, v26
	v_mov_b32_e32 v37, v1
	v_pk_mul_f32 v[14:15], v[24:25], v[14:15]
	v_pk_mul_f32 v[40:41], v[0:1], v[26:27] op_sel_hi:[0,1]
	v_pk_fma_f32 v[42:43], v[38:39], v[36:37], v[14:15]
	v_pk_fma_f32 v[24:25], v[38:39], v[36:37], v[14:15] neg_lo:[0,0,1] neg_hi:[0,0,1]
	v_pk_fma_f32 v[14:15], v[0:1], v[26:27], v[42:43] op_sel_hi:[0,1,1] neg_lo:[1,0,0] neg_hi:[1,0,0]
	v_pk_fma_f32 v[24:25], v[0:1], v[26:27], v[24:25] op_sel_hi:[0,1,1] neg_lo:[1,0,0] neg_hi:[1,0,0]
	v_add_f32_e32 v14, v42, v40
                                        ; implicit-def: $vgpr26_vgpr27
.LBB0_15:
	s_andn2_saveexec_b64 s[0:1], s[0:1]
	s_cbranch_execz .LBB0_17
; %bb.16:
	ds_read_b32 v1, v28 offset:900
	s_waitcnt lgkmcnt(1)
	v_mov_b32_e32 v0, v27
	v_add_f32_e32 v14, v27, v26
	s_waitcnt lgkmcnt(0)
	v_pk_add_f32 v[24:25], v[26:27], v[0:1] neg_lo:[0,1] neg_hi:[0,1]
	s_nop 0
	v_mov_b32_e32 v25, 0
	v_xor_b32_e32 v0, 0x80000000, v1
	v_mov_b32_e32 v15, v25
	ds_write_b32 v28, v0 offset:900
.LBB0_17:
	s_or_b64 exec, exec, s[0:1]
	global_load_dwordx2 v[0:1], v[22:23], off offset:1736
	s_waitcnt lgkmcnt(0)
	global_load_dwordx2 v[26:27], v[18:19], off offset:1736
	global_load_dwordx2 v[36:37], v[20:21], off offset:1736
	;; [unrolled: 1-line block ×3, first 2 shown]
	ds_write_b64 v29, v[14:15]
	ds_write_b64 v5, v[24:25] offset:1792
	v_lshl_add_u32 v22, v8, 3, v28
	ds_read_b64 v[8:9], v22
	ds_read_b64 v[14:15], v5 offset:1664
	global_load_dwordx2 v[12:13], v[12:13], off offset:1736
	v_mov_b32_e32 v17, 0.5
	v_mov_b32_e32 v18, v17
	s_waitcnt lgkmcnt(0)
	v_pk_add_f32 v[20:21], v[8:9], v[14:15]
	v_pk_add_f32 v[8:9], v[8:9], v[14:15] neg_lo:[0,1] neg_hi:[0,1]
	v_mov_b32_e32 v14, v21
	v_mov_b32_e32 v15, v8
	v_pk_mul_f32 v[14:15], v[14:15], 0.5 op_sel_hi:[1,0]
	s_waitcnt vmcnt(4)
	v_mov_b32_e32 v19, v1
	v_mov_b32_e32 v21, v14
	v_mov_b32_e32 v8, v15
	v_mov_b32_e32 v16, v1
	v_pk_mul_f32 v[18:19], v[20:21], v[18:19]
	s_nop 0
	v_pk_fma_f32 v[20:21], v[16:17], v[8:9], v[18:19] neg_lo:[1,0,0] neg_hi:[1,0,0]
	v_pk_fma_f32 v[8:9], v[16:17], v[8:9], v[18:19]
	v_pk_fma_f32 v[18:19], v[0:1], v[14:15], v[20:21] op_sel_hi:[0,1,1] neg_lo:[1,0,0] neg_hi:[1,0,0]
	v_pk_fma_f32 v[20:21], v[0:1], v[14:15], v[8:9] op_sel_hi:[0,1,1]
	v_pk_fma_f32 v[0:1], v[0:1], v[14:15], v[8:9] op_sel_hi:[0,1,1] neg_lo:[1,0,0] neg_hi:[1,0,0]
	v_mov_b32_e32 v21, v1
	ds_write_b64 v22, v[20:21]
	ds_write_b64 v5, v[18:19] offset:1664
	ds_read_b64 v[0:1], v34
	ds_read_b64 v[8:9], v5 offset:1536
	global_load_dwordx2 v[10:11], v[10:11], off offset:1736
	v_mov_b32_e32 v14, v17
	s_waitcnt vmcnt(4)
	v_mov_b32_e32 v15, v27
	v_mov_b32_e32 v16, v27
	s_waitcnt lgkmcnt(0)
	v_pk_add_f32 v[18:19], v[0:1], v[8:9]
	v_pk_add_f32 v[0:1], v[0:1], v[8:9] neg_lo:[0,1] neg_hi:[0,1]
	v_mov_b32_e32 v8, v19
	v_mov_b32_e32 v9, v0
	v_pk_mul_f32 v[8:9], v[8:9], 0.5 op_sel_hi:[1,0]
	s_nop 0
	v_mov_b32_e32 v19, v8
	v_mov_b32_e32 v0, v9
	v_pk_mul_f32 v[14:15], v[18:19], v[14:15]
	s_nop 0
	v_pk_fma_f32 v[18:19], v[16:17], v[0:1], v[14:15] neg_lo:[1,0,0] neg_hi:[1,0,0]
	v_pk_fma_f32 v[0:1], v[16:17], v[0:1], v[14:15]
	v_pk_fma_f32 v[14:15], v[26:27], v[8:9], v[18:19] op_sel_hi:[0,1,1] neg_lo:[1,0,0] neg_hi:[1,0,0]
	v_pk_fma_f32 v[18:19], v[26:27], v[8:9], v[0:1] op_sel_hi:[0,1,1]
	v_pk_fma_f32 v[0:1], v[26:27], v[8:9], v[0:1] op_sel_hi:[0,1,1] neg_lo:[1,0,0] neg_hi:[1,0,0]
	v_mov_b32_e32 v19, v1
	ds_write_b64 v34, v[18:19]
	ds_write_b64 v5, v[14:15] offset:1536
	ds_read_b64 v[0:1], v33
	ds_read_b64 v[8:9], v5 offset:1408
	v_mov_b32_e32 v14, v17
	s_waitcnt vmcnt(3)
	v_mov_b32_e32 v15, v37
	v_mov_b32_e32 v16, v37
	s_waitcnt lgkmcnt(0)
	v_pk_add_f32 v[18:19], v[0:1], v[8:9]
	v_pk_add_f32 v[0:1], v[0:1], v[8:9] neg_lo:[0,1] neg_hi:[0,1]
	v_mov_b32_e32 v8, v19
	v_mov_b32_e32 v9, v0
	v_pk_mul_f32 v[8:9], v[8:9], 0.5 op_sel_hi:[1,0]
	s_nop 0
	v_mov_b32_e32 v19, v8
	v_mov_b32_e32 v0, v9
	v_pk_mul_f32 v[14:15], v[18:19], v[14:15]
	s_nop 0
	v_pk_fma_f32 v[18:19], v[16:17], v[0:1], v[14:15] neg_lo:[1,0,0] neg_hi:[1,0,0]
	v_pk_fma_f32 v[0:1], v[16:17], v[0:1], v[14:15]
	v_pk_fma_f32 v[14:15], v[36:37], v[8:9], v[18:19] op_sel_hi:[0,1,1] neg_lo:[1,0,0] neg_hi:[1,0,0]
	v_pk_fma_f32 v[18:19], v[36:37], v[8:9], v[0:1] op_sel_hi:[0,1,1]
	v_pk_fma_f32 v[0:1], v[36:37], v[8:9], v[0:1] op_sel_hi:[0,1,1] neg_lo:[1,0,0] neg_hi:[1,0,0]
	v_mov_b32_e32 v19, v1
	ds_write_b64 v33, v[18:19]
	ds_write_b64 v5, v[14:15] offset:1408
	ds_read_b64 v[0:1], v32
	ds_read_b64 v[8:9], v5 offset:1280
	;; [unrolled: 25-line block ×4, first 2 shown]
	v_mov_b32_e32 v12, v17
	s_waitcnt vmcnt(0)
	v_mov_b32_e32 v13, v11
	v_mov_b32_e32 v16, v11
	s_waitcnt lgkmcnt(0)
	v_pk_add_f32 v[14:15], v[0:1], v[8:9]
	v_pk_add_f32 v[0:1], v[0:1], v[8:9] neg_lo:[0,1] neg_hi:[0,1]
	v_mov_b32_e32 v8, v15
	v_mov_b32_e32 v9, v0
	v_pk_mul_f32 v[8:9], v[8:9], 0.5 op_sel_hi:[1,0]
	s_nop 0
	v_mov_b32_e32 v15, v8
	v_mov_b32_e32 v0, v9
	v_pk_mul_f32 v[12:13], v[14:15], v[12:13]
	s_nop 0
	v_pk_fma_f32 v[14:15], v[16:17], v[0:1], v[12:13] neg_lo:[1,0,0] neg_hi:[1,0,0]
	v_pk_fma_f32 v[0:1], v[16:17], v[0:1], v[12:13]
	v_pk_fma_f32 v[12:13], v[10:11], v[8:9], v[14:15] op_sel_hi:[0,1,1] neg_lo:[1,0,0] neg_hi:[1,0,0]
	v_pk_fma_f32 v[14:15], v[10:11], v[8:9], v[0:1] op_sel_hi:[0,1,1]
	v_pk_fma_f32 v[0:1], v[10:11], v[8:9], v[0:1] op_sel_hi:[0,1,1] neg_lo:[1,0,0] neg_hi:[1,0,0]
	v_mov_b32_e32 v15, v1
	ds_write_b64 v30, v[14:15]
	ds_write_b64 v5, v[12:13] offset:1024
	s_waitcnt lgkmcnt(0)
	; wave barrier
	s_waitcnt lgkmcnt(0)
	s_and_saveexec_b64 s[0:1], vcc
	s_cbranch_execz .LBB0_20
; %bb.18:
	v_mul_lo_u32 v5, s3, v6
	v_mad_u64_u32 v[0:1], s[0:1], s2, v6, 0
	v_lshl_add_u32 v6, v4, 3, v28
	v_mul_lo_u32 v7, s2, v7
	ds_read2_b64 v[8:11], v6 offset1:16
	v_add3_u32 v1, v1, v7, v5
	v_lshl_add_u64 v[0:1], v[0:1], 3, s[6:7]
	v_mov_b32_e32 v5, 0
	v_lshl_add_u64 v[0:1], v[2:3], 3, v[0:1]
	v_lshl_add_u64 v[2:3], v[4:5], 3, v[0:1]
	ds_read2_b64 v[12:15], v6 offset0:32 offset1:48
	s_waitcnt lgkmcnt(1)
	global_store_dwordx2 v[2:3], v[8:9], off
	v_add_u32_e32 v2, 16, v4
	v_mov_b32_e32 v3, v5
	v_lshl_add_u64 v[2:3], v[2:3], 3, v[0:1]
	global_store_dwordx2 v[2:3], v[10:11], off
	v_add_u32_e32 v2, 32, v4
	v_mov_b32_e32 v3, v5
	v_lshl_add_u64 v[2:3], v[2:3], 3, v[0:1]
	ds_read2_b64 v[8:11], v6 offset0:64 offset1:80
	s_waitcnt lgkmcnt(1)
	global_store_dwordx2 v[2:3], v[12:13], off
	v_add_u32_e32 v2, 48, v4
	v_mov_b32_e32 v3, v5
	v_lshl_add_u64 v[2:3], v[2:3], 3, v[0:1]
	global_store_dwordx2 v[2:3], v[14:15], off
	v_add_u32_e32 v2, 64, v4
	v_mov_b32_e32 v3, v5
	;; [unrolled: 10-line block ×6, first 2 shown]
	v_lshl_add_u64 v[2:3], v[2:3], 3, v[0:1]
	s_waitcnt lgkmcnt(0)
	global_store_dwordx2 v[2:3], v[8:9], off
	v_add_u32_e32 v2, 0xd0, v4
	v_mov_b32_e32 v3, v5
	v_lshl_add_u64 v[2:3], v[2:3], 3, v[0:1]
	v_cmp_eq_u32_e32 vcc, 15, v4
	global_store_dwordx2 v[2:3], v[10:11], off
	s_and_b64 exec, exec, vcc
	s_cbranch_execz .LBB0_20
; %bb.19:
	ds_read_b64 v[2:3], v6 offset:1672
	s_waitcnt lgkmcnt(0)
	global_store_dwordx2 v[0:1], v[2:3], off offset:1792
.LBB0_20:
	s_endpgm
	.section	.rodata,"a",@progbits
	.p2align	6, 0x0
	.amdhsa_kernel fft_rtc_back_len224_factors_7_2_2_2_2_2_wgs_64_tpt_16_halfLds_sp_op_CI_CI_unitstride_sbrr_R2C_dirReg
		.amdhsa_group_segment_fixed_size 0
		.amdhsa_private_segment_fixed_size 0
		.amdhsa_kernarg_size 104
		.amdhsa_user_sgpr_count 2
		.amdhsa_user_sgpr_dispatch_ptr 0
		.amdhsa_user_sgpr_queue_ptr 0
		.amdhsa_user_sgpr_kernarg_segment_ptr 1
		.amdhsa_user_sgpr_dispatch_id 0
		.amdhsa_user_sgpr_kernarg_preload_length 0
		.amdhsa_user_sgpr_kernarg_preload_offset 0
		.amdhsa_user_sgpr_private_segment_size 0
		.amdhsa_uses_dynamic_stack 0
		.amdhsa_enable_private_segment 0
		.amdhsa_system_sgpr_workgroup_id_x 1
		.amdhsa_system_sgpr_workgroup_id_y 0
		.amdhsa_system_sgpr_workgroup_id_z 0
		.amdhsa_system_sgpr_workgroup_info 0
		.amdhsa_system_vgpr_workitem_id 0
		.amdhsa_next_free_vgpr 84
		.amdhsa_next_free_sgpr 28
		.amdhsa_accum_offset 84
		.amdhsa_reserve_vcc 1
		.amdhsa_float_round_mode_32 0
		.amdhsa_float_round_mode_16_64 0
		.amdhsa_float_denorm_mode_32 3
		.amdhsa_float_denorm_mode_16_64 3
		.amdhsa_dx10_clamp 1
		.amdhsa_ieee_mode 1
		.amdhsa_fp16_overflow 0
		.amdhsa_tg_split 0
		.amdhsa_exception_fp_ieee_invalid_op 0
		.amdhsa_exception_fp_denorm_src 0
		.amdhsa_exception_fp_ieee_div_zero 0
		.amdhsa_exception_fp_ieee_overflow 0
		.amdhsa_exception_fp_ieee_underflow 0
		.amdhsa_exception_fp_ieee_inexact 0
		.amdhsa_exception_int_div_zero 0
	.end_amdhsa_kernel
	.text
.Lfunc_end0:
	.size	fft_rtc_back_len224_factors_7_2_2_2_2_2_wgs_64_tpt_16_halfLds_sp_op_CI_CI_unitstride_sbrr_R2C_dirReg, .Lfunc_end0-fft_rtc_back_len224_factors_7_2_2_2_2_2_wgs_64_tpt_16_halfLds_sp_op_CI_CI_unitstride_sbrr_R2C_dirReg
                                        ; -- End function
	.section	.AMDGPU.csdata,"",@progbits
; Kernel info:
; codeLenInByte = 8764
; NumSgprs: 34
; NumVgprs: 84
; NumAgprs: 0
; TotalNumVgprs: 84
; ScratchSize: 0
; MemoryBound: 0
; FloatMode: 240
; IeeeMode: 1
; LDSByteSize: 0 bytes/workgroup (compile time only)
; SGPRBlocks: 4
; VGPRBlocks: 10
; NumSGPRsForWavesPerEU: 34
; NumVGPRsForWavesPerEU: 84
; AccumOffset: 84
; Occupancy: 5
; WaveLimiterHint : 1
; COMPUTE_PGM_RSRC2:SCRATCH_EN: 0
; COMPUTE_PGM_RSRC2:USER_SGPR: 2
; COMPUTE_PGM_RSRC2:TRAP_HANDLER: 0
; COMPUTE_PGM_RSRC2:TGID_X_EN: 1
; COMPUTE_PGM_RSRC2:TGID_Y_EN: 0
; COMPUTE_PGM_RSRC2:TGID_Z_EN: 0
; COMPUTE_PGM_RSRC2:TIDIG_COMP_CNT: 0
; COMPUTE_PGM_RSRC3_GFX90A:ACCUM_OFFSET: 20
; COMPUTE_PGM_RSRC3_GFX90A:TG_SPLIT: 0
	.text
	.p2alignl 6, 3212836864
	.fill 256, 4, 3212836864
	.type	__hip_cuid_ac3aa5e3a48af775,@object ; @__hip_cuid_ac3aa5e3a48af775
	.section	.bss,"aw",@nobits
	.globl	__hip_cuid_ac3aa5e3a48af775
__hip_cuid_ac3aa5e3a48af775:
	.byte	0                               ; 0x0
	.size	__hip_cuid_ac3aa5e3a48af775, 1

	.ident	"AMD clang version 19.0.0git (https://github.com/RadeonOpenCompute/llvm-project roc-6.4.0 25133 c7fe45cf4b819c5991fe208aaa96edf142730f1d)"
	.section	".note.GNU-stack","",@progbits
	.addrsig
	.addrsig_sym __hip_cuid_ac3aa5e3a48af775
	.amdgpu_metadata
---
amdhsa.kernels:
  - .agpr_count:     0
    .args:
      - .actual_access:  read_only
        .address_space:  global
        .offset:         0
        .size:           8
        .value_kind:     global_buffer
      - .offset:         8
        .size:           8
        .value_kind:     by_value
      - .actual_access:  read_only
        .address_space:  global
        .offset:         16
        .size:           8
        .value_kind:     global_buffer
      - .actual_access:  read_only
        .address_space:  global
        .offset:         24
        .size:           8
        .value_kind:     global_buffer
      - .actual_access:  read_only
        .address_space:  global
        .offset:         32
        .size:           8
        .value_kind:     global_buffer
      - .offset:         40
        .size:           8
        .value_kind:     by_value
      - .actual_access:  read_only
        .address_space:  global
        .offset:         48
        .size:           8
        .value_kind:     global_buffer
      - .actual_access:  read_only
        .address_space:  global
        .offset:         56
        .size:           8
        .value_kind:     global_buffer
      - .offset:         64
        .size:           4
        .value_kind:     by_value
      - .actual_access:  read_only
        .address_space:  global
        .offset:         72
        .size:           8
        .value_kind:     global_buffer
      - .actual_access:  read_only
        .address_space:  global
        .offset:         80
        .size:           8
        .value_kind:     global_buffer
      - .actual_access:  read_only
        .address_space:  global
        .offset:         88
        .size:           8
        .value_kind:     global_buffer
      - .actual_access:  write_only
        .address_space:  global
        .offset:         96
        .size:           8
        .value_kind:     global_buffer
    .group_segment_fixed_size: 0
    .kernarg_segment_align: 8
    .kernarg_segment_size: 104
    .language:       OpenCL C
    .language_version:
      - 2
      - 0
    .max_flat_workgroup_size: 64
    .name:           fft_rtc_back_len224_factors_7_2_2_2_2_2_wgs_64_tpt_16_halfLds_sp_op_CI_CI_unitstride_sbrr_R2C_dirReg
    .private_segment_fixed_size: 0
    .sgpr_count:     34
    .sgpr_spill_count: 0
    .symbol:         fft_rtc_back_len224_factors_7_2_2_2_2_2_wgs_64_tpt_16_halfLds_sp_op_CI_CI_unitstride_sbrr_R2C_dirReg.kd
    .uniform_work_group_size: 1
    .uses_dynamic_stack: false
    .vgpr_count:     84
    .vgpr_spill_count: 0
    .wavefront_size: 64
amdhsa.target:   amdgcn-amd-amdhsa--gfx950
amdhsa.version:
  - 1
  - 2
...

	.end_amdgpu_metadata
